;; amdgpu-corpus repo=ROCm/rocFFT kind=compiled arch=gfx1030 opt=O3
	.text
	.amdgcn_target "amdgcn-amd-amdhsa--gfx1030"
	.amdhsa_code_object_version 6
	.protected	bluestein_single_back_len6561_dim1_half_op_CI_CI ; -- Begin function bluestein_single_back_len6561_dim1_half_op_CI_CI
	.globl	bluestein_single_back_len6561_dim1_half_op_CI_CI
	.p2align	8
	.type	bluestein_single_back_len6561_dim1_half_op_CI_CI,@function
bluestein_single_back_len6561_dim1_half_op_CI_CI: ; @bluestein_single_back_len6561_dim1_half_op_CI_CI
; %bb.0:
	s_load_dwordx4 s[0:3], s[4:5], 0x28
	v_mul_u32_u24_e32 v1, 0x10e, v0
	v_mov_b32_e32 v2, 0
	v_lshrrev_b32_e32 v3, 16, v1
	v_add_nc_u32_e32 v1, s6, v3
	s_waitcnt lgkmcnt(0)
	v_cmp_gt_u64_e32 vcc_lo, s[0:1], v[1:2]
	s_and_saveexec_b32 s0, vcc_lo
	s_cbranch_execz .LBB0_2
; %bb.1:
	s_clause 0x1
	s_load_dwordx4 s[8:11], s[4:5], 0x18
	s_load_dwordx4 s[16:19], s[4:5], 0x0
	v_mul_lo_u16 v2, 0xf3, v3
	v_mov_b32_e32 v76, 2
	v_sub_nc_u16 v58, v0, v2
	v_and_b32_e32 v0, 0xffff, v58
	v_and_b32_e32 v59, 0xff, v58
	v_lshlrev_b32_e32 v131, 2, v0
	v_add_co_u32 v72, null, 0xf3, v0
	s_waitcnt lgkmcnt(0)
	s_load_dwordx4 s[12:15], s[8:9], 0x0
	v_add_co_u32 v77, null, 0x1e6, v0
	v_add_co_u32 v175, s0, s16, v131
	v_add_co_ci_u32_e64 v176, null, s17, 0, s0
	v_add_nc_u32_e32 v166, 0x25e0, v131
	v_add_co_u32 v14, s1, 0x800, v175
	v_add_co_u32 v20, s6, 0x1000, v175
	;; [unrolled: 1-line block ×4, first 2 shown]
	v_add_nc_u32_e32 v169, 0x4800, v131
	v_add_nc_u32_e32 v160, 0x780, v131
	;; [unrolled: 1-line block ×4, first 2 shown]
	s_waitcnt lgkmcnt(0)
	v_mad_u64_u32 v[2:3], null, s14, v1, 0
	v_mad_u64_u32 v[4:5], null, s12, v0, 0
	s_mul_i32 s0, s13, 0x222c
	s_mul_hi_u32 s14, s12, 0x222c
	s_mul_i32 s9, s12, 0x222c
	s_add_i32 s14, s14, s0
	v_add_nc_u32_e32 v154, 0xf00, v131
	v_add_nc_u32_e32 v171, 0x5740, v131
	v_mad_u64_u32 v[6:7], null, s15, v1, v[3:4]
	v_add_nc_u32_e32 v148, 0x3500, v131
	v_add_nc_u32_e32 v145, 0x16c0, v131
	;; [unrolled: 1-line block ×6, first 2 shown]
	v_mad_u64_u32 v[7:8], null, s13, v0, v[5:6]
	v_mov_b32_e32 v3, v6
	v_add_co_u32 v6, vcc_lo, 0x2000, v175
	v_add_nc_u32_e32 v172, 0x4440, v131
	v_add_nc_u32_e32 v173, 0x1e40, v131
	v_lshlrev_b64 v[2:3], 2, v[2:3]
	v_mov_b32_e32 v5, v7
	v_add_co_ci_u32_e32 v7, vcc_lo, 0, v176, vcc_lo
	v_add_nc_u32_e32 v146, 0x5b00, v131
	v_add_co_u32 v110, null, 0x2d9, v0
	v_lshlrev_b64 v[4:5], 2, v[4:5]
	v_add_co_u32 v2, vcc_lo, s2, v2
	v_add_co_ci_u32_e32 v3, vcc_lo, s3, v3, vcc_lo
	v_add_co_u32 v16, s2, 0x3000, v175
	v_add_co_u32 v4, vcc_lo, v2, v4
	v_add_co_ci_u32_e32 v5, vcc_lo, v3, v5, vcc_lo
	v_add_co_u32 v18, s3, 0x5000, v175
	v_add_co_u32 v8, vcc_lo, v4, s9
	v_add_co_ci_u32_e32 v9, vcc_lo, s14, v5, vcc_lo
	global_load_dword v165, v[6:7], off offset:556
	global_load_dword v26, v[8:9], off
	v_add_co_u32 v8, s0, v8, s9
	v_add_co_u32 v2, vcc_lo, 0x4000, v175
	v_add_co_ci_u32_e64 v9, s0, s14, v9, s0
	v_add_co_ci_u32_e32 v3, vcc_lo, 0, v176, vcc_lo
	global_load_dword v27, v[8:9], off
	global_load_dword v164, v[2:3], off offset:1112
	v_add_co_u32 v10, vcc_lo, 0x4800, v175
	v_add_co_u32 v12, s0, 0x2800, v175
	v_add_co_ci_u32_e32 v11, vcc_lo, 0, v176, vcc_lo
	v_add_co_ci_u32_e64 v13, vcc_lo, 0, v176, s0
	v_add_co_ci_u32_e64 v15, vcc_lo, 0, v176, s1
	s_mul_i32 s1, s12, 0xffffbf74
	v_add_co_ci_u32_e64 v17, vcc_lo, 0, v176, s2
	v_add_co_ci_u32_e64 v19, vcc_lo, 0, v176, s3
	;; [unrolled: 1-line block ×5, first 2 shown]
	s_mul_hi_u32 s0, s12, 0xffffbf74
	s_clause 0x11
	global_load_dword v163, v[6:7], off offset:1528
	global_load_dword v158, v[12:13], off offset:452
	;; [unrolled: 1-line block ×18, first 2 shown]
	v_add_co_u32 v6, vcc_lo, v8, s1
	global_load_dword v8, v[4:5], off
	s_clause 0x1
	global_load_dword v168, v131, s[16:17]
	global_load_dword v167, v131, s[16:17] offset:972
	s_mul_i32 s2, s13, 0xffffbf74
	s_sub_i32 s0, s0, s12
	v_add_co_u32 v217, null, 0x3cc, v0
	s_add_i32 s0, s0, s2
	v_add_co_u32 v119, null, 0x4bf, v0
	v_add_co_ci_u32_e32 v7, vcc_lo, s0, v9, vcc_lo
	v_add_co_u32 v216, null, 0x5b2, v0
	v_add_co_u32 v215, null, 0x6a5, v0
	global_load_dword v9, v[6:7], off
	v_add_co_u32 v4, vcc_lo, v6, s9
	v_add_co_ci_u32_e32 v5, vcc_lo, s14, v7, vcc_lo
	v_add_co_u32 v214, null, 0x798, v0
	v_add_co_u32 v6, vcc_lo, v4, s9
	v_add_co_ci_u32_e32 v7, vcc_lo, s14, v5, vcc_lo
	global_load_dword v10, v[4:5], off
	v_add_co_u32 v4, vcc_lo, v6, s1
	v_add_co_ci_u32_e32 v5, vcc_lo, s0, v7, vcc_lo
	global_load_dword v11, v[6:7], off
	;; [unrolled: 3-line block ×15, first 2 shown]
	s_waitcnt vmcnt(39)
	v_lshrrev_b32_e32 v24, 16, v26
	v_mul_f16_sdwa v25, v165, v26 dst_sel:DWORD dst_unused:UNUSED_PAD src0_sel:WORD_1 src1_sel:DWORD
	v_mul_f16_sdwa v4, v165, v24 dst_sel:DWORD dst_unused:UNUSED_PAD src0_sel:WORD_1 src1_sel:DWORD
	v_fma_f16 v5, v165, v24, -v25
	s_waitcnt vmcnt(38)
	v_lshrrev_b32_e32 v24, 16, v27
	s_waitcnt vmcnt(37)
	v_mul_f16_sdwa v25, v164, v27 dst_sel:DWORD dst_unused:UNUSED_PAD src0_sel:WORD_1 src1_sel:DWORD
	v_fmac_f16_e32 v4, v165, v26
	v_fma_f16 v25, v164, v24, -v25
	v_mul_f16_sdwa v24, v164, v24 dst_sel:DWORD dst_unused:UNUSED_PAD src0_sel:WORD_1 src1_sel:DWORD
	v_fmac_f16_e32 v24, v164, v27
	v_pack_b32_f16 v24, v24, v25
	s_waitcnt vmcnt(18)
	v_lshrrev_b32_e32 v26, 16, v8
	s_waitcnt vmcnt(17)
	v_mul_f16_sdwa v27, v168, v8 dst_sel:DWORD dst_unused:UNUSED_PAD src0_sel:WORD_1 src1_sel:DWORD
	v_fma_f16 v27, v168, v26, -v27
	v_mul_f16_sdwa v26, v168, v26 dst_sel:DWORD dst_unused:UNUSED_PAD src0_sel:WORD_1 src1_sel:DWORD
	v_fmac_f16_e32 v26, v168, v8
	v_pack_b32_f16 v8, v4, v5
	s_waitcnt vmcnt(15)
	v_lshrrev_b32_e32 v4, 16, v9
	v_mul_f16_sdwa v5, v167, v9 dst_sel:DWORD dst_unused:UNUSED_PAD src0_sel:WORD_1 src1_sel:DWORD
	v_mul_f16_sdwa v29, v167, v4 dst_sel:DWORD dst_unused:UNUSED_PAD src0_sel:WORD_1 src1_sel:DWORD
	v_fma_f16 v25, v167, v4, -v5
	v_add_co_u32 v4, vcc_lo, v6, s9
	v_add_co_ci_u32_e32 v5, vcc_lo, s14, v7, vcc_lo
	v_fmac_f16_e32 v29, v167, v9
	global_load_dword v9, v[6:7], off
	ds_write_b32 v131, v8 offset:8748
	ds_write_b32 v131, v24 offset:17496
	global_load_dword v159, v131, s[16:17] offset:1944
	v_pack_b32_f16 v7, v26, v27
	v_pack_b32_f16 v25, v29, v25
	v_add_co_u32 v6, vcc_lo, v4, s1
	s_waitcnt vmcnt(16)
	v_lshrrev_b32_e32 v8, 16, v10
	v_mul_f16_sdwa v24, v163, v10 dst_sel:DWORD dst_unused:UNUSED_PAD src0_sel:WORD_1 src1_sel:DWORD
	ds_write2_b32 v131, v7, v25 offset1:243
	global_load_dword v25, v[4:5], off
	s_waitcnt vmcnt(16)
	v_lshrrev_b32_e32 v4, 16, v11
	v_add_co_ci_u32_e32 v7, vcc_lo, s0, v5, vcc_lo
	v_mul_f16_sdwa v26, v163, v8 dst_sel:DWORD dst_unused:UNUSED_PAD src0_sel:WORD_1 src1_sel:DWORD
	v_fma_f16 v8, v163, v8, -v24
	v_mul_f16_sdwa v5, v161, v11 dst_sel:DWORD dst_unused:UNUSED_PAD src0_sel:WORD_1 src1_sel:DWORD
	v_mul_f16_sdwa v24, v161, v4 dst_sel:DWORD dst_unused:UNUSED_PAD src0_sel:WORD_1 src1_sel:DWORD
	s_mov_b32 s16, 0x3fb013fb
	v_fmac_f16_e32 v26, v163, v10
	s_mov_b32 s17, 0x3f23fb01
	v_fma_f16 v10, v161, v4, -v5
	v_fmac_f16_e32 v24, v161, v11
	v_add_co_u32 v4, vcc_lo, v6, s9
	v_add_co_ci_u32_e32 v5, vcc_lo, s14, v7, vcc_lo
	global_load_dword v11, v[6:7], off
	v_pack_b32_f16 v6, v26, v8
	s_waitcnt vmcnt(15)
	v_lshrrev_b32_e32 v7, 16, v13
	v_pack_b32_f16 v8, v24, v10
	v_mul_f16_sdwa v10, v158, v13 dst_sel:DWORD dst_unused:UNUSED_PAD src0_sel:WORD_1 src1_sel:DWORD
	v_fma_f16 v10, v158, v7, -v10
	v_mul_f16_sdwa v7, v158, v7 dst_sel:DWORD dst_unused:UNUSED_PAD src0_sel:WORD_1 src1_sel:DWORD
	v_fmac_f16_e32 v7, v158, v13
	v_pack_b32_f16 v7, v7, v10
	v_lshrrev_b32_e32 v10, 16, v12
	ds_write2_b32 v166, v6, v7 offset0:6 offset1:249
	s_waitcnt vmcnt(14)
	v_lshrrev_b32_e32 v6, 16, v14
	v_mul_f16_sdwa v7, v156, v14 dst_sel:DWORD dst_unused:UNUSED_PAD src0_sel:WORD_1 src1_sel:DWORD
	v_fma_f16 v7, v156, v6, -v7
	v_mul_f16_sdwa v6, v156, v6 dst_sel:DWORD dst_unused:UNUSED_PAD src0_sel:WORD_1 src1_sel:DWORD
	v_fmac_f16_e32 v6, v156, v14
	v_pack_b32_f16 v6, v6, v7
	s_waitcnt vmcnt(13)
	v_mul_f16_sdwa v7, v155, v15 dst_sel:DWORD dst_unused:UNUSED_PAD src0_sel:WORD_1 src1_sel:DWORD
	ds_write2_b32 v169, v8, v6 offset0:9 offset1:252
	v_lshrrev_b32_e32 v6, 16, v15
	v_fma_f16 v8, v155, v6, -v7
	s_waitcnt vmcnt(2)
	v_mul_f16_sdwa v13, v159, v12 dst_sel:DWORD dst_unused:UNUSED_PAD src0_sel:WORD_1 src1_sel:DWORD
	v_fma_f16 v13, v159, v10, -v13
	v_mul_f16_sdwa v10, v159, v10 dst_sel:DWORD dst_unused:UNUSED_PAD src0_sel:WORD_1 src1_sel:DWORD
	v_fmac_f16_e32 v10, v159, v12
	v_mul_f16_sdwa v12, v155, v6 dst_sel:DWORD dst_unused:UNUSED_PAD src0_sel:WORD_1 src1_sel:DWORD
	v_add_co_u32 v6, vcc_lo, 0x1800, v175
	v_add_co_ci_u32_e32 v7, vcc_lo, 0, v176, vcc_lo
	v_fmac_f16_e32 v12, v155, v15
	s_clause 0x2
	global_load_dword v138, v[6:7], off offset:660
	global_load_dword v135, v[6:7], off offset:1632
	;; [unrolled: 1-line block ×3, first 2 shown]
	v_pack_b32_f16 v2, v10, v13
	v_lshrrev_b32_e32 v3, 16, v16
	v_pack_b32_f16 v6, v12, v8
	v_mul_f16_sdwa v7, v152, v16 dst_sel:DWORD dst_unused:UNUSED_PAD src0_sel:WORD_1 src1_sel:DWORD
	v_lshrrev_b32_e32 v8, 16, v17
	global_load_dword v10, v[4:5], off
	v_lshrrev_b32_e32 v12, 16, v21
	ds_write2_b32 v160, v2, v6 offset0:6 offset1:249
	v_fma_f16 v7, v152, v3, -v7
	v_mul_f16_sdwa v3, v152, v3 dst_sel:DWORD dst_unused:UNUSED_PAD src0_sel:WORD_1 src1_sel:DWORD
	v_lshrrev_b32_e32 v2, 16, v19
	v_mul_f16_sdwa v6, v149, v19 dst_sel:DWORD dst_unused:UNUSED_PAD src0_sel:WORD_1 src1_sel:DWORD
	s_waitcnt vmcnt(5)
	v_mul_f16_sdwa v15, v137, v25 dst_sel:DWORD dst_unused:UNUSED_PAD src0_sel:WORD_1 src1_sel:DWORD
	v_fmac_f16_e32 v3, v152, v16
	v_fma_f16 v6, v149, v2, -v6
	v_mul_f16_sdwa v2, v149, v2 dst_sel:DWORD dst_unused:UNUSED_PAD src0_sel:WORD_1 src1_sel:DWORD
	v_pack_b32_f16 v3, v3, v7
	v_mul_f16_sdwa v7, v151, v17 dst_sel:DWORD dst_unused:UNUSED_PAD src0_sel:WORD_1 src1_sel:DWORD
	v_fmac_f16_e32 v2, v149, v19
	v_pack_b32_f16 v2, v2, v6
	v_fma_f16 v6, v151, v8, -v7
	v_mul_f16_sdwa v7, v151, v8 dst_sel:DWORD dst_unused:UNUSED_PAD src0_sel:WORD_1 src1_sel:DWORD
	v_lshrrev_b32_e32 v8, 16, v20
	ds_write2_b32 v157, v3, v2 offset0:4 offset1:247
	v_add_co_u32 v2, vcc_lo, v4, s9
	v_fmac_f16_e32 v7, v151, v17
	v_add_co_ci_u32_e32 v3, vcc_lo, s14, v5, vcc_lo
	v_mul_f16_sdwa v4, v147, v20 dst_sel:DWORD dst_unused:UNUSED_PAD src0_sel:WORD_1 src1_sel:DWORD
	v_pack_b32_f16 v5, v7, v6
	v_mul_f16_sdwa v6, v147, v8 dst_sel:DWORD dst_unused:UNUSED_PAD src0_sel:WORD_1 src1_sel:DWORD
	v_lshrrev_b32_e32 v7, 16, v18
	v_fma_f16 v4, v147, v8, -v4
	v_mul_f16_sdwa v8, v150, v18 dst_sel:DWORD dst_unused:UNUSED_PAD src0_sel:WORD_1 src1_sel:DWORD
	global_load_dword v13, v[2:3], off
	v_fmac_f16_e32 v6, v147, v20
	v_fma_f16 v8, v150, v7, -v8
	v_mul_f16_sdwa v7, v150, v7 dst_sel:DWORD dst_unused:UNUSED_PAD src0_sel:WORD_1 src1_sel:DWORD
	v_pack_b32_f16 v4, v6, v4
	v_mul_f16_sdwa v6, v144, v21 dst_sel:DWORD dst_unused:UNUSED_PAD src0_sel:WORD_1 src1_sel:DWORD
	v_fmac_f16_e32 v7, v150, v18
	ds_write2_b32 v170, v5, v4 offset0:7 offset1:250
	v_fma_f16 v6, v144, v12, -v6
	v_mul_f16_sdwa v12, v144, v12 dst_sel:DWORD dst_unused:UNUSED_PAD src0_sel:WORD_1 src1_sel:DWORD
	v_add_co_u32 v4, vcc_lo, v2, s1
	v_add_co_ci_u32_e32 v5, vcc_lo, s0, v3, vcc_lo
	v_fmac_f16_e32 v12, v144, v21
	v_add_co_u32 v2, vcc_lo, v4, s9
	v_pack_b32_f16 v7, v7, v8
	v_add_co_ci_u32_e32 v3, vcc_lo, s14, v5, vcc_lo
	v_pack_b32_f16 v6, v12, v6
	global_load_dword v12, v[4:5], off
	v_add_co_u32 v4, vcc_lo, v2, s9
	v_add_co_ci_u32_e32 v5, vcc_lo, s14, v3, vcc_lo
	ds_write2_b32 v154, v7, v6 offset0:12 offset1:255
	v_lshrrev_b32_e32 v6, 16, v22
	global_load_dword v2, v[2:3], off
	v_mul_f16_sdwa v3, v143, v22 dst_sel:DWORD dst_unused:UNUSED_PAD src0_sel:WORD_1 src1_sel:DWORD
	global_load_dword v4, v[4:5], off
	v_mul_f16_sdwa v7, v142, v23 dst_sel:DWORD dst_unused:UNUSED_PAD src0_sel:WORD_1 src1_sel:DWORD
	v_mul_f16_sdwa v5, v143, v6 dst_sel:DWORD dst_unused:UNUSED_PAD src0_sel:WORD_1 src1_sel:DWORD
	;; [unrolled: 1-line block ×3, first 2 shown]
	v_fma_f16 v3, v143, v6, -v3
	v_lshrrev_b32_e32 v6, 16, v23
	s_load_dwordx4 s[12:15], s[10:11], 0x0
	v_fmac_f16_e32 v5, v143, v22
	v_fma_f16 v7, v142, v6, -v7
	v_mul_f16_sdwa v6, v142, v6 dst_sel:DWORD dst_unused:UNUSED_PAD src0_sel:WORD_1 src1_sel:DWORD
	v_pack_b32_f16 v3, v5, v3
	v_lshrrev_b32_e32 v5, 16, v28
	v_fmac_f16_e32 v6, v142, v23
	v_fma_f16 v14, v141, v5, -v8
	v_mul_f16_sdwa v8, v139, v9 dst_sel:DWORD dst_unused:UNUSED_PAD src0_sel:WORD_1 src1_sel:DWORD
	v_mul_f16_sdwa v5, v141, v5 dst_sel:DWORD dst_unused:UNUSED_PAD src0_sel:WORD_1 src1_sel:DWORD
	v_pack_b32_f16 v6, v6, v7
	v_lshrrev_b32_e32 v7, 16, v9
	v_fmac_f16_e32 v5, v141, v28
	s_waitcnt lgkmcnt(0)
	s_mul_hi_u32 s11, s12, 0x222c
	v_fma_f16 v8, v139, v7, -v8
	v_mul_f16_sdwa v7, v139, v7 dst_sel:DWORD dst_unused:UNUSED_PAD src0_sel:WORD_1 src1_sel:DWORD
	v_pack_b32_f16 v5, v5, v14
	v_fmac_f16_e32 v7, v139, v9
	v_lshrrev_b32_e32 v9, 16, v25
	v_pack_b32_f16 v7, v7, v8
	v_fma_f16 v15, v137, v9, -v15
	v_mul_f16_sdwa v9, v137, v9 dst_sel:DWORD dst_unused:UNUSED_PAD src0_sel:WORD_1 src1_sel:DWORD
	ds_write2_b32 v148, v3, v7 offset0:10 offset1:253
	s_waitcnt vmcnt(8)
	v_lshrrev_b32_e32 v3, 16, v11
	v_fmac_f16_e32 v9, v137, v25
	v_pack_b32_f16 v8, v9, v15
	ds_write2_b32 v171, v6, v8 offset0:5 offset1:248
	v_add_co_u32 v8, vcc_lo, 0x6000, v175
	v_add_co_ci_u32_e32 v9, vcc_lo, 0, v176, vcc_lo
	global_load_dword v133, v[8:9], off offset:696
	s_waitcnt vmcnt(8)
	v_mul_f16_sdwa v7, v138, v11 dst_sel:DWORD dst_unused:UNUSED_PAD src0_sel:WORD_1 src1_sel:DWORD
	v_fma_f16 v6, v138, v3, -v7
	v_mul_f16_sdwa v3, v138, v3 dst_sel:DWORD dst_unused:UNUSED_PAD src0_sel:WORD_1 src1_sel:DWORD
	v_fmac_f16_e32 v3, v138, v11
	v_pack_b32_f16 v3, v3, v6
	s_waitcnt vmcnt(5)
	v_lshrrev_b32_e32 v6, 16, v10
	ds_write2_b32 v145, v5, v3 offset0:2 offset1:245
	v_mul_f16_sdwa v3, v136, v10 dst_sel:DWORD dst_unused:UNUSED_PAD src0_sel:WORD_1 src1_sel:DWORD
	v_mul_f16_sdwa v5, v136, v6 dst_sel:DWORD dst_unused:UNUSED_PAD src0_sel:WORD_1 src1_sel:DWORD
	v_fma_f16 v3, v136, v6, -v3
	v_fmac_f16_e32 v5, v136, v10
	v_pack_b32_f16 v3, v5, v3
	s_waitcnt vmcnt(4)
	v_lshrrev_b32_e32 v6, 16, v13
	v_mul_f16_sdwa v7, v134, v13 dst_sel:DWORD dst_unused:UNUSED_PAD src0_sel:WORD_1 src1_sel:DWORD
	v_fma_f16 v7, v134, v6, -v7
	v_mul_f16_sdwa v6, v134, v6 dst_sel:DWORD dst_unused:UNUSED_PAD src0_sel:WORD_1 src1_sel:DWORD
	v_fmac_f16_e32 v6, v134, v13
	v_pack_b32_f16 v6, v6, v7
	s_waitcnt vmcnt(3)
	v_lshrrev_b32_e32 v10, 16, v12
	v_mul_f16_sdwa v5, v135, v12 dst_sel:DWORD dst_unused:UNUSED_PAD src0_sel:WORD_1 src1_sel:DWORD
	v_fma_f16 v5, v135, v10, -v5
	s_waitcnt vmcnt(2)
	v_lshrrev_b32_e32 v11, 16, v2
	v_mul_f16_sdwa v7, v132, v2 dst_sel:DWORD dst_unused:UNUSED_PAD src0_sel:WORD_1 src1_sel:DWORD
	v_mul_f16_sdwa v10, v135, v10 dst_sel:DWORD dst_unused:UNUSED_PAD src0_sel:WORD_1 src1_sel:DWORD
	v_fma_f16 v7, v132, v11, -v7
	v_mul_f16_sdwa v11, v132, v11 dst_sel:DWORD dst_unused:UNUSED_PAD src0_sel:WORD_1 src1_sel:DWORD
	v_fmac_f16_e32 v10, v135, v12
	v_fmac_f16_e32 v11, v132, v2
	s_waitcnt vmcnt(1)
	v_lshrrev_b32_e32 v2, 16, v4
	s_waitcnt vmcnt(0)
	v_mul_f16_sdwa v12, v133, v4 dst_sel:DWORD dst_unused:UNUSED_PAD src0_sel:WORD_1 src1_sel:DWORD
	v_fma_f16 v12, v133, v2, -v12
	v_mul_f16_sdwa v2, v133, v2 dst_sel:DWORD dst_unused:UNUSED_PAD src0_sel:WORD_1 src1_sel:DWORD
	v_fmac_f16_e32 v2, v133, v4
	v_pack_b32_f16 v4, v10, v5
	v_pack_b32_f16 v5, v11, v7
	;; [unrolled: 1-line block ×3, first 2 shown]
	ds_write_b32 v131, v4 offset:7776
	ds_write2_b32 v140, v3, v5 offset1:243
	ds_write2_b32 v174, v6, v2 offset0:11 offset1:254
	s_waitcnt lgkmcnt(0)
	s_barrier
	buffer_gl0_inv
	ds_read2_b32 v[2:3], v153 offset0:2 offset1:245
	ds_read2_b32 v[4:5], v148 offset0:10 offset1:253
	;; [unrolled: 1-line block ×3, first 2 shown]
	s_waitcnt lgkmcnt(1)
	v_add_f16_e32 v10, v4, v3
	s_waitcnt lgkmcnt(0)
	v_lshrrev_b32_e32 v12, 16, v7
	v_add_f16_e32 v13, v7, v4
	v_lshrrev_b32_e32 v18, 16, v6
	v_fmac_f16_e32 v7, -0.5, v10
	v_add_f16_sdwa v10, v4, v3 dst_sel:DWORD dst_unused:UNUSED_PAD src0_sel:WORD_1 src1_sel:WORD_1
	v_add_f16_sdwa v14, v12, v4 dst_sel:DWORD dst_unused:UNUSED_PAD src0_sel:DWORD src1_sel:WORD_1
	v_add_f16_e32 v13, v13, v3
	v_fmac_f16_e32 v12, -0.5, v10
	v_sub_f16_sdwa v10, v4, v3 dst_sel:DWORD dst_unused:UNUSED_PAD src0_sel:WORD_1 src1_sel:WORD_1
	v_sub_f16_e32 v4, v4, v3
	v_add_f16_sdwa v14, v14, v3 dst_sel:DWORD dst_unused:UNUSED_PAD src0_sel:DWORD src1_sel:WORD_1
	v_fmamk_f16 v15, v10, 0x3aee, v7
	v_fmac_f16_e32 v7, 0xbaee, v10
	ds_read2_b32 v[10:11], v157 offset0:4 offset1:247
	v_fmamk_f16 v16, v4, 0xbaee, v12
	v_fmac_f16_e32 v12, 0x3aee, v4
	v_pack_b32_f16 v13, v13, v14
	v_mul_u32_u24_e32 v14, 3, v119
	v_pack_b32_f16 v17, v7, v12
	v_lshlrev_b32_e32 v178, 2, v14
	s_waitcnt lgkmcnt(0)
	v_add_f16_e32 v4, v11, v2
	v_add_f16_e32 v7, v6, v11
	v_sub_f16_sdwa v21, v11, v2 dst_sel:DWORD dst_unused:UNUSED_PAD src0_sel:WORD_1 src1_sel:WORD_1
	v_add_f16_sdwa v22, v11, v2 dst_sel:DWORD dst_unused:UNUSED_PAD src0_sel:WORD_1 src1_sel:WORD_1
	v_sub_f16_e32 v23, v11, v2
	v_fma_f16 v4, -0.5, v4, v6
	v_add_f16_sdwa v6, v18, v11 dst_sel:DWORD dst_unused:UNUSED_PAD src0_sel:DWORD src1_sel:WORD_1
	v_add_f16_e32 v19, v7, v2
	v_fmac_f16_e32 v18, -0.5, v22
	v_fmamk_f16 v22, v21, 0x3aee, v4
	v_add_f16_sdwa v20, v6, v2 dst_sel:DWORD dst_unused:UNUSED_PAD src0_sel:DWORD src1_sel:WORD_1
	ds_read2_b32 v[2:3], v162 offset0:12 offset1:255
	ds_read2_b32 v[6:7], v160 offset0:6 offset1:249
	v_fmac_f16_e32 v4, 0xbaee, v21
	v_pack_b32_f16 v19, v19, v20
	v_mul_u32_u24_e32 v20, 3, v217
	v_lshlrev_b32_e32 v180, 2, v20
	s_waitcnt lgkmcnt(1)
	v_add_f16_e32 v11, v10, v3
	s_waitcnt lgkmcnt(0)
	v_lshrrev_b32_e32 v12, 16, v7
	v_add_f16_e32 v24, v7, v10
	v_sub_f16_sdwa v25, v10, v3 dst_sel:DWORD dst_unused:UNUSED_PAD src0_sel:WORD_1 src1_sel:WORD_1
	v_sub_f16_e32 v26, v10, v3
	v_fmac_f16_e32 v7, -0.5, v11
	v_add_f16_sdwa v11, v10, v3 dst_sel:DWORD dst_unused:UNUSED_PAD src0_sel:WORD_1 src1_sel:WORD_1
	v_add_f16_sdwa v27, v12, v10 dst_sel:DWORD dst_unused:UNUSED_PAD src0_sel:DWORD src1_sel:WORD_1
	v_lshrrev_b32_e32 v30, 16, v6
	v_add_f16_e32 v24, v24, v3
	v_fmamk_f16 v28, v25, 0x3aee, v7
	v_fmac_f16_e32 v12, -0.5, v11
	ds_read2_b32 v[10:11], v166 offset0:6 offset1:249
	v_fmac_f16_e32 v7, 0xbaee, v25
	v_add_f16_sdwa v27, v27, v3 dst_sel:DWORD dst_unused:UNUSED_PAD src0_sel:DWORD src1_sel:WORD_1
	v_fmamk_f16 v25, v26, 0xbaee, v12
	v_fmac_f16_e32 v12, 0x3aee, v26
	v_pack_b32_f16 v24, v24, v27
	v_pack_b32_f16 v25, v28, v25
	;; [unrolled: 1-line block ×3, first 2 shown]
	s_waitcnt lgkmcnt(0)
	v_add_f16_e32 v26, v11, v2
	v_add_f16_e32 v7, v6, v11
	v_sub_f16_sdwa v33, v11, v2 dst_sel:DWORD dst_unused:UNUSED_PAD src0_sel:WORD_1 src1_sel:WORD_1
	v_add_f16_sdwa v34, v11, v2 dst_sel:DWORD dst_unused:UNUSED_PAD src0_sel:WORD_1 src1_sel:WORD_1
	v_sub_f16_e32 v35, v11, v2
	v_fma_f16 v26, -0.5, v26, v6
	v_add_f16_sdwa v6, v30, v11 dst_sel:DWORD dst_unused:UNUSED_PAD src0_sel:DWORD src1_sel:WORD_1
	v_add_f16_e32 v31, v7, v2
	v_fmac_f16_e32 v30, -0.5, v34
	v_fmamk_f16 v34, v33, 0x3aee, v26
	v_add_f16_sdwa v32, v6, v2 dst_sel:DWORD dst_unused:UNUSED_PAD src0_sel:DWORD src1_sel:WORD_1
	ds_read2_b32 v[2:3], v172 offset0:6 offset1:249
	ds_read2_b32 v[6:7], v131 offset1:243
	v_fmac_f16_e32 v26, 0xbaee, v33
	v_pack_b32_f16 v31, v31, v32
	v_mul_u32_u24_e32 v32, 3, v77
	v_lshlrev_b32_e32 v182, 2, v32
	s_waitcnt lgkmcnt(1)
	v_add_f16_e32 v11, v10, v3
	s_waitcnt lgkmcnt(0)
	v_lshrrev_b32_e32 v12, 16, v7
	v_add_f16_e32 v36, v7, v10
	v_sub_f16_sdwa v37, v10, v3 dst_sel:DWORD dst_unused:UNUSED_PAD src0_sel:WORD_1 src1_sel:WORD_1
	v_sub_f16_e32 v38, v10, v3
	v_fmac_f16_e32 v7, -0.5, v11
	v_add_f16_sdwa v11, v10, v3 dst_sel:DWORD dst_unused:UNUSED_PAD src0_sel:WORD_1 src1_sel:WORD_1
	v_add_f16_sdwa v39, v12, v10 dst_sel:DWORD dst_unused:UNUSED_PAD src0_sel:DWORD src1_sel:WORD_1
	v_lshrrev_b32_e32 v42, 16, v6
	v_add_f16_e32 v36, v36, v3
	v_fmamk_f16 v40, v37, 0x3aee, v7
	v_fmac_f16_e32 v12, -0.5, v11
	ds_read2_b32 v[10:11], v173 offset0:8 offset1:251
	v_fmac_f16_e32 v7, 0xbaee, v37
	v_add_f16_sdwa v39, v39, v3 dst_sel:DWORD dst_unused:UNUSED_PAD src0_sel:DWORD src1_sel:WORD_1
	v_fmamk_f16 v37, v38, 0xbaee, v12
	v_fmac_f16_e32 v12, 0x3aee, v38
	v_pack_b32_f16 v36, v36, v39
	v_pack_b32_f16 v37, v40, v37
	;; [unrolled: 1-line block ×3, first 2 shown]
	s_waitcnt lgkmcnt(0)
	v_add_f16_e32 v38, v11, v2
	v_add_f16_e32 v7, v6, v11
	v_add_f16_sdwa v3, v11, v2 dst_sel:DWORD dst_unused:UNUSED_PAD src0_sel:WORD_1 src1_sel:WORD_1
	v_sub_f16_sdwa v43, v11, v2 dst_sel:DWORD dst_unused:UNUSED_PAD src0_sel:WORD_1 src1_sel:WORD_1
	v_sub_f16_e32 v44, v11, v2
	v_fma_f16 v38, -0.5, v38, v6
	v_add_f16_e32 v6, v7, v2
	v_add_f16_sdwa v7, v42, v11 dst_sel:DWORD dst_unused:UNUSED_PAD src0_sel:DWORD src1_sel:WORD_1
	v_fmac_f16_e32 v42, -0.5, v3
	v_add_f16_sdwa v7, v7, v2 dst_sel:DWORD dst_unused:UNUSED_PAD src0_sel:DWORD src1_sel:WORD_1
	v_fmamk_f16 v2, v43, 0x3aee, v38
	v_fmamk_f16 v3, v44, 0xbaee, v42
	v_fmac_f16_e32 v38, 0xbaee, v43
	v_fmac_f16_e32 v42, 0x3aee, v44
	v_pack_b32_f16 v46, v6, v7
	v_pack_b32_f16 v45, v2, v3
	v_mul_lo_u16 v2, v58, 3
	v_pack_b32_f16 v38, v38, v42
	v_lshlrev_b32_sdwa v179, v76, v2 dst_sel:DWORD dst_unused:UNUSED_PAD src0_sel:DWORD src1_sel:WORD_0
	ds_read_b32 v47, v131 offset:25272
	ds_read2_b32 v[2:3], v145 offset0:2 offset1:245
	ds_read2_b32 v[6:7], v146 offset0:8 offset1:251
	ds_read2_b32 v[11:12], v140 offset1:243
	s_waitcnt lgkmcnt(0)
	s_barrier
	buffer_gl0_inv
	ds_write_b32 v179, v38 offset:8
	v_mul_u32_u24_e32 v38, 3, v72
	ds_write2_b32 v179, v46, v45 offset1:1
	v_lshlrev_b32_e32 v183, 2, v38
	ds_write2_b32 v183, v36, v37 offset1:1
	v_fmamk_f16 v36, v35, 0xbaee, v30
	v_fmac_f16_e32 v30, 0x3aee, v35
	ds_write_b32 v183, v41 offset:8
	v_add_f16_sdwa v14, v5, v6 dst_sel:DWORD dst_unused:UNUSED_PAD src0_sel:WORD_1 src1_sel:WORD_1
	v_pack_b32_f16 v34, v34, v36
	v_pack_b32_f16 v26, v26, v30
	ds_write2_b32 v182, v31, v34 offset1:1
	ds_write_b32 v182, v26 offset:8
	v_mul_u32_u24_e32 v26, 3, v110
	v_lshlrev_b32_e32 v181, 2, v26
	ds_write2_b32 v181, v24, v25 offset1:1
	v_fmamk_f16 v24, v23, 0xbaee, v18
	v_fmac_f16_e32 v18, 0x3aee, v23
	ds_write_b32 v181, v29 offset:8
	v_pack_b32_f16 v22, v22, v24
	v_pack_b32_f16 v4, v4, v18
	v_sub_f16_e32 v18, v5, v6
	ds_write2_b32 v180, v19, v22 offset1:1
	ds_write_b32 v180, v4 offset:8
	v_pack_b32_f16 v4, v15, v16
	v_add_f16_e32 v15, v5, v6
	v_sub_f16_sdwa v16, v5, v6 dst_sel:DWORD dst_unused:UNUSED_PAD src0_sel:WORD_1 src1_sel:WORD_1
	ds_write_b32 v178, v17 offset:8
	ds_write2_b32 v178, v13, v4 offset1:1
	v_lshrrev_b32_e32 v4, 16, v2
	v_add_f16_e32 v13, v2, v5
	v_fma_f16 v2, -0.5, v15, v2
	v_add_f16_sdwa v5, v4, v5 dst_sel:DWORD dst_unused:UNUSED_PAD src0_sel:DWORD src1_sel:WORD_1
	v_fmac_f16_e32 v4, -0.5, v14
	v_fmamk_f16 v14, v16, 0x3aee, v2
	v_add_f16_e32 v13, v13, v6
	v_fmac_f16_e32 v2, 0xbaee, v16
	v_add_f16_sdwa v5, v5, v6 dst_sel:DWORD dst_unused:UNUSED_PAD src0_sel:DWORD src1_sel:WORD_1
	v_fmamk_f16 v15, v18, 0xbaee, v4
	v_mul_u32_u24_e32 v6, 3, v216
	v_fmac_f16_e32 v4, 0x3aee, v18
	v_pack_b32_f16 v5, v13, v5
	v_pack_b32_f16 v14, v14, v15
	v_lshlrev_b32_e32 v184, 2, v6
	v_lshrrev_b32_e32 v6, 16, v3
	v_add_f16_e32 v13, v3, v11
	v_pack_b32_f16 v2, v2, v4
	ds_write2_b32 v184, v5, v14 offset1:1
	v_add_f16_e32 v5, v11, v7
	v_add_f16_sdwa v14, v6, v11 dst_sel:DWORD dst_unused:UNUSED_PAD src0_sel:DWORD src1_sel:WORD_1
	ds_write_b32 v184, v2 offset:8
	v_mul_u32_u24_e32 v2, 3, v215
	v_fmac_f16_e32 v3, -0.5, v5
	v_add_f16_sdwa v5, v11, v7 dst_sel:DWORD dst_unused:UNUSED_PAD src0_sel:WORD_1 src1_sel:WORD_1
	v_lshlrev_b32_e32 v185, 2, v2
	v_fmac_f16_e32 v6, -0.5, v5
	v_add_f16_e32 v5, v13, v7
	v_add_f16_sdwa v13, v14, v7 dst_sel:DWORD dst_unused:UNUSED_PAD src0_sel:DWORD src1_sel:WORD_1
	v_sub_f16_sdwa v14, v11, v7 dst_sel:DWORD dst_unused:UNUSED_PAD src0_sel:WORD_1 src1_sel:WORD_1
	v_sub_f16_e32 v7, v11, v7
	v_pack_b32_f16 v5, v5, v13
	v_fmamk_f16 v4, v14, 0x3aee, v3
	v_fmamk_f16 v11, v7, 0xbaee, v6
	v_fmac_f16_e32 v3, 0xbaee, v14
	v_fmac_f16_e32 v6, 0x3aee, v7
	v_mov_b32_e32 v14, 0xaaab
	v_sub_f16_e32 v7, v12, v47
	v_pack_b32_f16 v4, v4, v11
	v_pack_b32_f16 v2, v3, v6
	v_add_f16_e32 v3, v12, v47
	ds_write2_b32 v185, v5, v4 offset1:1
	v_lshrrev_b32_e32 v4, 16, v10
	ds_write_b32 v185, v2 offset:8
	v_mul_u32_u24_e32 v2, 3, v214
	v_add_f16_e32 v5, v10, v12
	v_fmac_f16_e32 v10, -0.5, v3
	v_add_f16_sdwa v3, v12, v47 dst_sel:DWORD dst_unused:UNUSED_PAD src0_sel:WORD_1 src1_sel:WORD_1
	v_add_f16_sdwa v6, v4, v12 dst_sel:DWORD dst_unused:UNUSED_PAD src0_sel:DWORD src1_sel:WORD_1
	v_lshlrev_b32_e32 v186, 2, v2
	v_mul_u32_u24_sdwa v2, v72, v14 dst_sel:DWORD dst_unused:UNUSED_PAD src0_sel:WORD_0 src1_sel:DWORD
	v_add_f16_e32 v5, v5, v47
	v_fmac_f16_e32 v4, -0.5, v3
	v_sub_f16_sdwa v3, v12, v47 dst_sel:DWORD dst_unused:UNUSED_PAD src0_sel:WORD_1 src1_sel:WORD_1
	v_add_f16_sdwa v6, v6, v47 dst_sel:DWORD dst_unused:UNUSED_PAD src0_sel:DWORD src1_sel:WORD_1
	v_lshrrev_b32_e32 v26, 17, v2
	v_mul_lo_u16 v2, 0xab, v59
	v_fmamk_f16 v11, v3, 0x3aee, v10
	v_fmac_f16_e32 v10, 0xbaee, v3
	v_fmamk_f16 v3, v7, 0xbaee, v4
	v_lshrrev_b16 v15, 9, v2
	v_mul_lo_u16 v2, v26, 3
	v_fmac_f16_e32 v4, 0x3aee, v7
	v_pack_b32_f16 v5, v5, v6
	v_pack_b32_f16 v3, v11, v3
	v_sub_nc_u16 v27, v72, v2
	v_pack_b32_f16 v4, v10, v4
	ds_write2_b32 v186, v5, v3 offset1:1
	ds_write_b32 v186, v4 offset:8
	v_lshlrev_b16 v3, 1, v27
	s_waitcnt lgkmcnt(0)
	s_barrier
	buffer_gl0_inv
	ds_read2_b32 v[6:7], v172 offset0:6 offset1:249
	v_lshlrev_b32_sdwa v3, v76, v3 dst_sel:DWORD dst_unused:UNUSED_PAD src0_sel:DWORD src1_sel:WORD_0
	v_mul_lo_u16 v2, v15, 3
	ds_read2_b32 v[12:13], v131 offset1:243
	v_mad_u16 v26, v26, 9, v27
	global_load_dwordx2 v[4:5], v3, s[18:19]
	v_sub_nc_u16 v2, v58, v2
	v_lshlrev_b32_sdwa v188, v76, v26 dst_sel:DWORD dst_unused:UNUSED_PAD src0_sel:DWORD src1_sel:WORD_0
	v_and_b32_e32 v16, 0xff, v2
	s_waitcnt lgkmcnt(1)
	v_lshrrev_b32_e32 v10, 16, v7
	v_lshrrev_b32_e32 v17, 16, v6
	s_waitcnt lgkmcnt(0)
	v_lshrrev_b32_e32 v21, 16, v13
	v_lshrrev_b32_e32 v34, 16, v12
	s_waitcnt vmcnt(0)
	v_mul_f16_sdwa v2, v10, v5 dst_sel:DWORD dst_unused:UNUSED_PAD src0_sel:DWORD src1_sel:WORD_1
	v_mul_f16_sdwa v29, v7, v5 dst_sel:DWORD dst_unused:UNUSED_PAD src0_sel:DWORD src1_sel:WORD_1
	v_fma_f16 v28, v7, v5, -v2
	v_lshlrev_b32_e32 v2, 3, v16
	v_fmac_f16_e32 v29, v10, v5
	global_load_dwordx2 v[2:3], v2, s[18:19]
	s_waitcnt vmcnt(0)
	v_mul_f16_sdwa v11, v17, v3 dst_sel:DWORD dst_unused:UNUSED_PAD src0_sel:DWORD src1_sel:WORD_1
	v_mul_f16_sdwa v19, v6, v3 dst_sel:DWORD dst_unused:UNUSED_PAD src0_sel:DWORD src1_sel:WORD_1
	v_fma_f16 v18, v6, v3, -v11
	ds_read2_b32 v[10:11], v166 offset0:6 offset1:249
	v_fmac_f16_e32 v19, v17, v3
	s_waitcnt lgkmcnt(0)
	v_lshrrev_b32_e32 v6, 16, v10
	v_mul_f16_sdwa v7, v10, v4 dst_sel:DWORD dst_unused:UNUSED_PAD src0_sel:DWORD src1_sel:WORD_1
	v_fmac_f16_e32 v7, v6, v4
	v_mul_f16_sdwa v6, v6, v4 dst_sel:DWORD dst_unused:UNUSED_PAD src0_sel:DWORD src1_sel:WORD_1
	v_add_f16_e32 v31, v21, v7
	v_fma_f16 v6, v10, v4, -v6
	v_add_f16_e32 v20, v6, v28
	v_add_f16_e32 v10, v13, v6
	v_sub_f16_e32 v6, v6, v28
	v_fmac_f16_e32 v13, -0.5, v20
	v_add_f16_e32 v20, v7, v29
	v_sub_f16_e32 v7, v7, v29
	v_add_f16_e32 v10, v10, v28
	v_add_f16_e32 v28, v31, v29
	v_fmac_f16_e32 v21, -0.5, v20
	v_fmamk_f16 v30, v7, 0x3aee, v13
	v_fmac_f16_e32 v13, 0xbaee, v7
	v_pack_b32_f16 v10, v10, v28
	v_fmamk_f16 v32, v6, 0xbaee, v21
	v_fmac_f16_e32 v21, 0x3aee, v6
	ds_read2_b32 v[6:7], v173 offset0:8 offset1:251
	v_pack_b32_f16 v27, v30, v32
	s_waitcnt lgkmcnt(0)
	v_lshrrev_b32_e32 v20, 16, v7
	v_mul_f16_sdwa v22, v7, v2 dst_sel:DWORD dst_unused:UNUSED_PAD src0_sel:DWORD src1_sel:WORD_1
	v_fmac_f16_e32 v22, v20, v2
	v_mul_f16_sdwa v20, v20, v2 dst_sel:DWORD dst_unused:UNUSED_PAD src0_sel:DWORD src1_sel:WORD_1
	v_add_f16_e32 v17, v22, v19
	v_fma_f16 v20, v7, v2, -v20
	v_sub_f16_e32 v37, v22, v19
	v_add_f16_e32 v7, v20, v18
	v_sub_f16_e32 v36, v20, v18
	v_fma_f16 v33, -0.5, v7, v12
	v_pack_b32_f16 v7, v13, v21
	v_mov_b32_e32 v13, 9
	v_add_f16_e32 v12, v12, v20
	v_mul_u32_u24_sdwa v13, v15, v13 dst_sel:DWORD dst_unused:UNUSED_PAD src0_sel:WORD_0 src1_sel:DWORD
	v_add_f16_e32 v15, v34, v22
	v_add_f16_e32 v12, v12, v18
	v_fmac_f16_e32 v34, -0.5, v17
	v_mul_u32_u24_sdwa v17, v216, v14 dst_sel:DWORD dst_unused:UNUSED_PAD src0_sel:WORD_0 src1_sel:DWORD
	v_add_lshl_u32 v177, v13, v16, 2
	v_add_f16_e32 v15, v15, v19
	v_mul_u32_u24_sdwa v16, v119, v14 dst_sel:DWORD dst_unused:UNUSED_PAD src0_sel:WORD_0 src1_sel:DWORD
	v_fmamk_f16 v13, v36, 0xbaee, v34
	v_mul_u32_u24_sdwa v18, v215, v14 dst_sel:DWORD dst_unused:UNUSED_PAD src0_sel:WORD_0 src1_sel:DWORD
	v_lshrrev_b32_e32 v43, 17, v17
	v_pack_b32_f16 v38, v12, v15
	v_fmamk_f16 v12, v37, 0x3aee, v33
	v_mul_u32_u24_sdwa v15, v217, v14 dst_sel:DWORD dst_unused:UNUSED_PAD src0_sel:WORD_0 src1_sel:DWORD
	v_lshrrev_b32_e32 v68, 17, v16
	v_lshrrev_b32_e32 v41, 17, v18
	v_fmac_f16_e32 v33, 0xbaee, v37
	v_pack_b32_f16 v39, v12, v13
	v_mul_u32_u24_sdwa v12, v77, v14 dst_sel:DWORD dst_unused:UNUSED_PAD src0_sel:WORD_0 src1_sel:DWORD
	v_mul_u32_u24_sdwa v13, v110, v14 dst_sel:DWORD dst_unused:UNUSED_PAD src0_sel:WORD_0 src1_sel:DWORD
	v_lshrrev_b32_e32 v67, 17, v15
	v_mul_u32_u24_sdwa v14, v214, v14 dst_sel:DWORD dst_unused:UNUSED_PAD src0_sel:WORD_0 src1_sel:DWORD
	v_fmac_f16_e32 v34, 0x3aee, v36
	v_lshrrev_b32_e32 v57, 17, v12
	v_lshrrev_b32_e32 v66, 17, v13
	;; [unrolled: 1-line block ×3, first 2 shown]
	v_pack_b32_f16 v29, v33, v34
	v_mul_lo_u16 v12, v57, 3
	v_sub_nc_u16 v69, v77, v12
	v_mul_lo_u16 v12, v66, 3
	v_sub_nc_u16 v70, v110, v12
	v_mul_lo_u16 v12, v67, 3
	v_lshlrev_b16 v13, 1, v70
	v_sub_nc_u16 v71, v217, v12
	v_mul_lo_u16 v12, v68, 3
	v_lshlrev_b32_sdwa v14, v76, v13 dst_sel:DWORD dst_unused:UNUSED_PAD src0_sel:DWORD src1_sel:WORD_0
	v_lshlrev_b16 v13, 1, v71
	v_sub_nc_u16 v73, v119, v12
	v_mul_lo_u16 v12, v43, 3
	v_lshlrev_b32_sdwa v16, v76, v13 dst_sel:DWORD dst_unused:UNUSED_PAD src0_sel:DWORD src1_sel:WORD_0
	v_lshlrev_b16 v13, 1, v73
	v_sub_nc_u16 v44, v216, v12
	v_mul_lo_u16 v12, v41, 3
	v_lshlrev_b32_sdwa v18, v76, v13 dst_sel:DWORD dst_unused:UNUSED_PAD src0_sel:DWORD src1_sel:WORD_0
	v_lshlrev_b16 v13, 1, v44
	v_sub_nc_u16 v42, v215, v12
	v_mul_lo_u16 v12, v35, 3
	v_lshlrev_b32_sdwa v20, v76, v13 dst_sel:DWORD dst_unused:UNUSED_PAD src0_sel:DWORD src1_sel:WORD_0
	v_lshlrev_b16 v13, 1, v42
	v_sub_nc_u16 v40, v214, v12
	v_lshlrev_b16 v12, 1, v69
	v_lshlrev_b32_sdwa v22, v76, v13 dst_sel:DWORD dst_unused:UNUSED_PAD src0_sel:DWORD src1_sel:WORD_0
	v_lshlrev_b16 v13, 1, v40
	v_lshlrev_b32_sdwa v12, v76, v12 dst_sel:DWORD dst_unused:UNUSED_PAD src0_sel:DWORD src1_sel:WORD_0
	v_lshlrev_b32_sdwa v24, v76, v13 dst_sel:DWORD dst_unused:UNUSED_PAD src0_sel:DWORD src1_sel:WORD_0
	s_clause 0x5
	global_load_dwordx2 v[12:13], v12, s[18:19]
	global_load_dwordx2 v[14:15], v14, s[18:19]
	;; [unrolled: 1-line block ×6, first 2 shown]
	ds_read_b32 v74, v131 offset:25272
	global_load_dwordx2 v[24:25], v24, s[18:19]
	ds_read2_b32 v[45:46], v160 offset0:6 offset1:249
	ds_read2_b32 v[47:48], v162 offset0:12 offset1:255
	;; [unrolled: 1-line block ×8, first 2 shown]
	ds_read2_b32 v[64:65], v140 offset1:243
	s_waitcnt vmcnt(0) lgkmcnt(0)
	s_barrier
	buffer_gl0_inv
	ds_write2_b32 v177, v38, v39 offset1:3
	ds_write_b32 v177, v29 offset:24
	ds_write2_b32 v188, v10, v27 offset1:3
	v_lshrrev_b32_e32 v10, 16, v11
	ds_write_b32 v188, v7 offset:24
	v_lshrrev_b32_e32 v33, 16, v46
	v_lshrrev_b32_e32 v27, 16, v47
	;; [unrolled: 1-line block ×4, first 2 shown]
	v_mul_f16_sdwa v26, v10, v12 dst_sel:DWORD dst_unused:UNUSED_PAD src0_sel:DWORD src1_sel:WORD_1
	v_mul_f16_sdwa v31, v47, v13 dst_sel:DWORD dst_unused:UNUSED_PAD src0_sel:DWORD src1_sel:WORD_1
	;; [unrolled: 1-line block ×5, first 2 shown]
	v_fma_f16 v26, v11, v12, -v26
	v_mul_f16_sdwa v11, v11, v12 dst_sel:DWORD dst_unused:UNUSED_PAD src0_sel:DWORD src1_sel:WORD_1
	v_fmac_f16_e32 v31, v27, v13
	v_mul_f16_sdwa v27, v49, v14 dst_sel:DWORD dst_unused:UNUSED_PAD src0_sel:DWORD src1_sel:WORD_1
	v_fma_f16 v30, v48, v15, -v30
	v_fmac_f16_e32 v32, v29, v15
	v_fmac_f16_e32 v11, v10, v12
	v_lshrrev_b32_e32 v10, 16, v49
	v_fma_f16 v28, v47, v13, -v28
	v_add_f16_e32 v38, v45, v26
	v_add_f16_e32 v39, v37, v11
	v_fmac_f16_e32 v27, v10, v14
	v_mul_f16_sdwa v10, v10, v14 dst_sel:DWORD dst_unused:UNUSED_PAD src0_sel:DWORD src1_sel:WORD_1
	v_add_f16_e32 v38, v38, v28
	v_add_f16_e32 v36, v33, v27
	v_fma_f16 v10, v49, v14, -v10
	v_add_f16_e32 v29, v10, v30
	v_add_f16_e32 v34, v46, v10
	v_sub_f16_e32 v10, v10, v30
	v_fmac_f16_e32 v46, -0.5, v29
	v_add_f16_e32 v29, v27, v32
	v_sub_f16_e32 v27, v27, v32
	v_add_f16_e32 v7, v34, v30
	v_mul_f16_sdwa v30, v53, v17 dst_sel:DWORD dst_unused:UNUSED_PAD src0_sel:DWORD src1_sel:WORD_1
	v_fmac_f16_e32 v33, -0.5, v29
	v_fmamk_f16 v29, v27, 0x3aee, v46
	v_fmac_f16_e32 v46, 0xbaee, v27
	v_fmamk_f16 v27, v10, 0xbaee, v33
	v_fmac_f16_e32 v33, 0x3aee, v10
	v_add_f16_e32 v10, v26, v28
	v_sub_f16_e32 v26, v26, v28
	v_mad_u16 v28, v57, 9, v69
	v_pack_b32_f16 v33, v46, v33
	v_fma_f16 v10, -0.5, v10, v45
	v_add_f16_e32 v45, v11, v31
	v_sub_f16_e32 v11, v11, v31
	v_add_f16_e32 v31, v39, v31
	v_lshlrev_b32_sdwa v190, v76, v28 dst_sel:DWORD dst_unused:UNUSED_PAD src0_sel:DWORD src1_sel:WORD_0
	v_lshrrev_b32_e32 v28, 16, v54
	v_fmac_f16_e32 v37, -0.5, v45
	v_pack_b32_f16 v31, v38, v31
	v_fmamk_f16 v38, v11, 0x3aee, v10
	v_fmac_f16_e32 v10, 0xbaee, v11
	v_fmamk_f16 v39, v26, 0xbaee, v37
	v_fmac_f16_e32 v37, 0x3aee, v26
	v_add_f16_e32 v11, v36, v32
	v_mad_u16 v26, v66, 9, v70
	v_lshrrev_b32_e32 v32, 16, v52
	v_pack_b32_f16 v38, v38, v39
	v_pack_b32_f16 v10, v10, v37
	v_pack_b32_f16 v7, v7, v11
	v_pack_b32_f16 v11, v29, v27
	v_lshlrev_b32_sdwa v189, v76, v26 dst_sel:DWORD dst_unused:UNUSED_PAD src0_sel:DWORD src1_sel:WORD_0
	ds_write2_b32 v190, v31, v38 offset1:3
	ds_write_b32 v190, v10 offset:24
	v_lshrrev_b32_e32 v26, 16, v53
	v_mul_f16_sdwa v29, v28, v19 dst_sel:DWORD dst_unused:UNUSED_PAD src0_sel:DWORD src1_sel:WORD_1
	ds_write2_b32 v189, v7, v11 offset1:3
	v_lshrrev_b32_e32 v7, 16, v50
	v_mul_f16_sdwa v11, v50, v16 dst_sel:DWORD dst_unused:UNUSED_PAD src0_sel:DWORD src1_sel:WORD_1
	v_mul_f16_sdwa v27, v26, v17 dst_sel:DWORD dst_unused:UNUSED_PAD src0_sel:DWORD src1_sel:WORD_1
	v_fmac_f16_e32 v30, v26, v17
	v_mul_f16_sdwa v26, v55, v18 dst_sel:DWORD dst_unused:UNUSED_PAD src0_sel:DWORD src1_sel:WORD_1
	v_mul_f16_sdwa v10, v7, v16 dst_sel:DWORD dst_unused:UNUSED_PAD src0_sel:DWORD src1_sel:WORD_1
	v_fmac_f16_e32 v11, v7, v16
	v_lshrrev_b32_e32 v7, 16, v55
	v_fma_f16 v29, v54, v19, -v29
	v_mul_f16_sdwa v31, v54, v19 dst_sel:DWORD dst_unused:UNUSED_PAD src0_sel:DWORD src1_sel:WORD_1
	v_fma_f16 v10, v50, v16, -v10
	v_fma_f16 v27, v53, v17, -v27
	v_fmac_f16_e32 v26, v7, v18
	v_mul_f16_sdwa v7, v7, v18 dst_sel:DWORD dst_unused:UNUSED_PAD src0_sel:DWORD src1_sel:WORD_1
	v_fmac_f16_e32 v31, v28, v19
	v_lshrrev_b32_e32 v37, 16, v51
	v_add_f16_e32 v38, v51, v10
	v_add_f16_e32 v36, v32, v26
	v_fma_f16 v7, v55, v18, -v7
	v_add_f16_e32 v45, v11, v30
	v_add_f16_e32 v39, v37, v11
	v_sub_f16_e32 v11, v11, v30
	v_add_f16_e32 v38, v38, v27
	v_add_f16_e32 v28, v7, v29
	;; [unrolled: 1-line block ×3, first 2 shown]
	v_sub_f16_e32 v7, v7, v29
	v_add_f16_e32 v30, v39, v30
	v_fmac_f16_e32 v37, -0.5, v45
	v_fmac_f16_e32 v52, -0.5, v28
	v_add_f16_e32 v28, v26, v31
	v_sub_f16_e32 v26, v26, v31
	v_pack_b32_f16 v30, v38, v30
	ds_write_b32 v189, v33 offset:24
	v_fmac_f16_e32 v32, -0.5, v28
	v_fmamk_f16 v28, v26, 0x3aee, v52
	v_fmac_f16_e32 v52, 0xbaee, v26
	v_fmamk_f16 v26, v7, 0xbaee, v32
	v_fmac_f16_e32 v32, 0x3aee, v7
	v_add_f16_e32 v7, v10, v27
	v_sub_f16_e32 v10, v10, v27
	v_mad_u16 v27, v67, 9, v71
	v_pack_b32_f16 v32, v52, v32
	v_fma_f16 v7, -0.5, v7, v51
	v_fmamk_f16 v39, v10, 0xbaee, v37
	v_fmac_f16_e32 v37, 0x3aee, v10
	v_lshlrev_b32_sdwa v191, v76, v27 dst_sel:DWORD dst_unused:UNUSED_PAD src0_sel:DWORD src1_sel:WORD_0
	v_add_f16_e32 v10, v34, v29
	v_fmamk_f16 v38, v11, 0x3aee, v7
	v_fmac_f16_e32 v7, 0xbaee, v11
	v_add_f16_e32 v11, v36, v31
	v_mad_u16 v27, v68, 9, v73
	v_mov_b32_e32 v34, 0xe38f
	v_pack_b32_f16 v38, v38, v39
	v_pack_b32_f16 v7, v7, v37
	v_lshlrev_b32_sdwa v192, v76, v27 dst_sel:DWORD dst_unused:UNUSED_PAD src0_sel:DWORD src1_sel:WORD_0
	v_lshrrev_b32_e32 v27, 16, v60
	ds_write2_b32 v191, v30, v38 offset1:3
	ds_write_b32 v191, v7 offset:24
	v_pack_b32_f16 v7, v10, v11
	v_pack_b32_f16 v10, v28, v26
	v_mul_f16_sdwa v11, v56, v20 dst_sel:DWORD dst_unused:UNUSED_PAD src0_sel:DWORD src1_sel:WORD_1
	v_mul_f16_sdwa v26, v62, v21 dst_sel:DWORD dst_unused:UNUSED_PAD src0_sel:DWORD src1_sel:WORD_1
	ds_write_b32 v192, v32 offset:24
	ds_write2_b32 v192, v7, v10 offset1:3
	v_lshrrev_b32_e32 v7, 16, v56
	v_mul_f16_sdwa v10, v7, v20 dst_sel:DWORD dst_unused:UNUSED_PAD src0_sel:DWORD src1_sel:WORD_1
	v_fmac_f16_e32 v11, v7, v20
	v_lshrrev_b32_e32 v7, 16, v62
	v_fma_f16 v10, v56, v20, -v10
	v_add_f16_e32 v29, v27, v11
	v_fmac_f16_e32 v26, v7, v21
	v_mul_f16_sdwa v7, v7, v21 dst_sel:DWORD dst_unused:UNUSED_PAD src0_sel:DWORD src1_sel:WORD_1
	v_add_f16_e32 v28, v11, v26
	v_fma_f16 v7, v62, v21, -v7
	v_sub_f16_e32 v11, v11, v26
	v_fmac_f16_e32 v27, -0.5, v28
	v_add_f16_e32 v28, v60, v10
	v_add_f16_e32 v30, v10, v7
	;; [unrolled: 1-line block ×3, first 2 shown]
	v_sub_f16_e32 v7, v10, v7
	v_add_f16_e32 v10, v29, v26
	v_mad_u16 v26, v43, 9, v44
	v_pack_b32_f16 v10, v28, v10
	v_fma_f16 v28, -0.5, v30, v60
	v_fmamk_f16 v30, v7, 0xbaee, v27
	v_lshlrev_b32_sdwa v193, v76, v26 dst_sel:DWORD dst_unused:UNUSED_PAD src0_sel:DWORD src1_sel:WORD_0
	v_fmac_f16_e32 v27, 0x3aee, v7
	v_lshrrev_b32_e32 v7, 16, v64
	v_fmamk_f16 v29, v11, 0x3aee, v28
	v_fmac_f16_e32 v28, 0xbaee, v11
	v_pack_b32_f16 v29, v29, v30
	v_lshrrev_b32_e32 v30, 16, v61
	v_pack_b32_f16 v27, v28, v27
	ds_write2_b32 v193, v10, v29 offset1:3
	v_lshrrev_b32_e32 v10, 16, v63
	v_mul_f16_sdwa v29, v63, v23 dst_sel:DWORD dst_unused:UNUSED_PAD src0_sel:DWORD src1_sel:WORD_1
	ds_write_b32 v193, v27 offset:24
	v_mul_f16_sdwa v26, v10, v23 dst_sel:DWORD dst_unused:UNUSED_PAD src0_sel:DWORD src1_sel:WORD_1
	v_fmac_f16_e32 v29, v10, v23
	v_mul_f16_sdwa v10, v64, v22 dst_sel:DWORD dst_unused:UNUSED_PAD src0_sel:DWORD src1_sel:WORD_1
	v_fma_f16 v26, v63, v23, -v26
	v_fmac_f16_e32 v10, v7, v22
	v_mul_f16_sdwa v7, v7, v22 dst_sel:DWORD dst_unused:UNUSED_PAD src0_sel:DWORD src1_sel:WORD_1
	v_add_f16_e32 v32, v30, v10
	v_fma_f16 v7, v64, v22, -v7
	v_add_f16_e32 v11, v7, v26
	v_add_f16_e32 v31, v61, v7
	v_sub_f16_e32 v7, v7, v26
	v_fmac_f16_e32 v61, -0.5, v11
	v_add_f16_e32 v11, v10, v29
	v_sub_f16_e32 v10, v10, v29
	v_fmac_f16_e32 v30, -0.5, v11
	v_add_f16_e32 v11, v32, v29
	v_add_f16_e32 v29, v31, v26
	v_mad_u16 v26, v41, 9, v42
	v_fmamk_f16 v28, v10, 0x3aee, v61
	v_fmac_f16_e32 v61, 0xbaee, v10
	v_lshrrev_b32_e32 v10, 16, v65
	v_pack_b32_f16 v11, v29, v11
	v_fmamk_f16 v29, v7, 0xbaee, v30
	v_lshlrev_b32_sdwa v194, v76, v26 dst_sel:DWORD dst_unused:UNUSED_PAD src0_sel:DWORD src1_sel:WORD_0
	v_mul_f16_sdwa v26, v65, v24 dst_sel:DWORD dst_unused:UNUSED_PAD src0_sel:DWORD src1_sel:WORD_1
	v_fmac_f16_e32 v30, 0x3aee, v7
	v_pack_b32_f16 v28, v28, v29
	v_lshrrev_b32_e32 v29, 16, v6
	v_fmac_f16_e32 v26, v10, v24
	v_pack_b32_f16 v7, v61, v30
	ds_write2_b32 v194, v11, v28 offset1:3
	v_mul_f16_sdwa v11, v10, v24 dst_sel:DWORD dst_unused:UNUSED_PAD src0_sel:DWORD src1_sel:WORD_1
	v_lshrrev_b32_e32 v10, 16, v74
	v_mul_f16_sdwa v28, v74, v25 dst_sel:DWORD dst_unused:UNUSED_PAD src0_sel:DWORD src1_sel:WORD_1
	v_add_f16_e32 v31, v29, v26
	ds_write_b32 v194, v7 offset:24
	v_fma_f16 v11, v65, v24, -v11
	v_mul_f16_sdwa v27, v10, v25 dst_sel:DWORD dst_unused:UNUSED_PAD src0_sel:DWORD src1_sel:WORD_1
	v_fmac_f16_e32 v28, v10, v25
	v_add_f16_e32 v30, v6, v11
	v_fma_f16 v27, v74, v25, -v27
	v_add_f16_e32 v10, v11, v27
	v_fmac_f16_e32 v6, -0.5, v10
	v_add_f16_e32 v10, v26, v28
	v_fmac_f16_e32 v29, -0.5, v10
	v_sub_f16_e32 v10, v26, v28
	v_fmamk_f16 v26, v10, 0x3aee, v6
	v_fmac_f16_e32 v6, 0xbaee, v10
	v_sub_f16_e32 v10, v11, v27
	v_fmamk_f16 v11, v10, 0xbaee, v29
	v_fmac_f16_e32 v29, 0x3aee, v10
	v_add_f16_e32 v10, v30, v27
	v_add_f16_e32 v27, v31, v28
	v_mad_u16 v28, v35, 9, v40
	v_pack_b32_f16 v11, v26, v11
	v_pack_b32_f16 v6, v6, v29
	;; [unrolled: 1-line block ×3, first 2 shown]
	v_lshlrev_b32_sdwa v195, v76, v28 dst_sel:DWORD dst_unused:UNUSED_PAD src0_sel:DWORD src1_sel:WORD_0
	ds_write2_b32 v195, v10, v11 offset1:3
	ds_write_b32 v195, v6 offset:24
	v_mul_u32_u24_sdwa v6, v72, v34 dst_sel:DWORD dst_unused:UNUSED_PAD src0_sel:WORD_0 src1_sel:DWORD
	s_waitcnt lgkmcnt(0)
	s_barrier
	buffer_gl0_inv
	ds_read2_b32 v[26:27], v172 offset0:6 offset1:249
	v_lshrrev_b32_e32 v43, 19, v6
	ds_read2_b32 v[41:42], v166 offset0:6 offset1:249
	v_mul_lo_u16 v6, v43, 9
	v_sub_nc_u16 v44, v72, v6
	v_mul_lo_u16 v6, v59, 57
	v_mad_u16 v43, v43, 27, v44
	v_lshrrev_b16 v28, 9, v6
	v_lshlrev_b16 v6, 3, v44
	s_waitcnt lgkmcnt(1)
	v_lshrrev_b32_e32 v30, 16, v26
	v_lshrrev_b32_e32 v32, 16, v27
	v_mul_lo_u16 v7, v28, 9
	v_and_b32_e32 v6, 0xffff, v6
	v_lshlrev_b32_sdwa v196, v76, v43 dst_sel:DWORD dst_unused:UNUSED_PAD src0_sel:DWORD src1_sel:WORD_0
	s_waitcnt lgkmcnt(0)
	v_lshrrev_b32_e32 v43, 16, v42
	v_sub_nc_u16 v10, v58, v7
	v_add_co_u32 v6, s0, s18, v6
	v_add_co_ci_u32_e64 v7, null, s19, 0, s0
	v_and_b32_e32 v29, 0xff, v10
	global_load_dwordx2 v[10:11], v[6:7], off offset:24
	v_lshlrev_b32_e32 v6, 3, v29
	global_load_dwordx2 v[6:7], v6, s[18:19] offset:24
	s_waitcnt vmcnt(1)
	v_mul_f16_sdwa v33, v32, v11 dst_sel:DWORD dst_unused:UNUSED_PAD src0_sel:DWORD src1_sel:WORD_1
	v_mul_f16_sdwa v46, v27, v11 dst_sel:DWORD dst_unused:UNUSED_PAD src0_sel:DWORD src1_sel:WORD_1
	v_fma_f16 v45, v27, v11, -v33
	v_fmac_f16_e32 v46, v32, v11
	s_waitcnt vmcnt(0)
	v_mul_f16_sdwa v31, v30, v7 dst_sel:DWORD dst_unused:UNUSED_PAD src0_sel:DWORD src1_sel:WORD_1
	v_mul_f16_sdwa v33, v26, v7 dst_sel:DWORD dst_unused:UNUSED_PAD src0_sel:DWORD src1_sel:WORD_1
	v_fma_f16 v31, v26, v7, -v31
	v_mov_b32_e32 v26, 27
	v_fmac_f16_e32 v33, v30, v7
	v_mul_f16_sdwa v30, v41, v10 dst_sel:DWORD dst_unused:UNUSED_PAD src0_sel:DWORD src1_sel:WORD_1
	v_mul_u32_u24_sdwa v28, v28, v26 dst_sel:DWORD dst_unused:UNUSED_PAD src0_sel:WORD_0 src1_sel:DWORD
	v_lshrrev_b32_e32 v26, 16, v41
	v_add_lshl_u32 v187, v28, v29, 2
	v_fmac_f16_e32 v30, v26, v10
	v_mul_f16_sdwa v26, v26, v10 dst_sel:DWORD dst_unused:UNUSED_PAD src0_sel:DWORD src1_sel:WORD_1
	v_mul_u32_u24_sdwa v28, v110, v34 dst_sel:DWORD dst_unused:UNUSED_PAD src0_sel:WORD_0 src1_sel:DWORD
	v_fma_f16 v32, v41, v10, -v26
	ds_read2_b32 v[26:27], v131 offset1:243
	ds_read2_b32 v[40:41], v173 offset0:8 offset1:251
	v_lshrrev_b32_e32 v82, 19, v28
	v_add_f16_e32 v35, v32, v45
	v_mul_lo_u16 v28, v82, 9
	v_sub_nc_u16 v83, v110, v28
	v_lshlrev_b16 v28, 3, v83
	s_waitcnt lgkmcnt(1)
	v_lshrrev_b32_e32 v36, 16, v27
	v_add_f16_e32 v47, v27, v32
	v_fmac_f16_e32 v27, -0.5, v35
	v_add_f16_e32 v35, v30, v46
	v_lshrrev_b32_e32 v52, 16, v26
	v_add_f16_e32 v49, v36, v30
	v_sub_f16_e32 v30, v30, v46
	v_and_b32_e32 v28, 0xffff, v28
	v_fmac_f16_e32 v36, -0.5, v35
	v_add_f16_e32 v46, v49, v46
	v_fmamk_f16 v48, v30, 0x3aee, v27
	v_fmac_f16_e32 v27, 0xbaee, v30
	v_sub_f16_e32 v30, v32, v45
	s_waitcnt lgkmcnt(0)
	v_mul_f16_sdwa v32, v41, v6 dst_sel:DWORD dst_unused:UNUSED_PAD src0_sel:DWORD src1_sel:WORD_1
	v_add_f16_e32 v45, v47, v45
	v_fmamk_f16 v50, v30, 0xbaee, v36
	v_fmac_f16_e32 v36, 0x3aee, v30
	v_lshrrev_b32_e32 v30, 16, v41
	v_pack_b32_f16 v44, v45, v46
	v_pack_b32_f16 v45, v48, v50
	v_fmac_f16_e32 v32, v30, v6
	v_mul_f16_sdwa v30, v30, v6 dst_sel:DWORD dst_unused:UNUSED_PAD src0_sel:DWORD src1_sel:WORD_1
	v_sub_f16_e32 v53, v32, v33
	v_fma_f16 v30, v41, v6, -v30
	v_pack_b32_f16 v41, v27, v36
	v_add_f16_e32 v27, v52, v32
	v_mul_u32_u24_sdwa v36, v215, v34 dst_sel:DWORD dst_unused:UNUSED_PAD src0_sel:WORD_0 src1_sel:DWORD
	v_add_f16_e32 v35, v30, v31
	v_sub_f16_e32 v54, v30, v31
	v_add_f16_e32 v27, v27, v33
	v_lshrrev_b32_e32 v89, 19, v36
	v_fma_f16 v51, -0.5, v35, v26
	v_add_f16_e32 v26, v26, v30
	v_add_f16_e32 v35, v32, v33
	v_mul_u32_u24_sdwa v30, v217, v34 dst_sel:DWORD dst_unused:UNUSED_PAD src0_sel:WORD_0 src1_sel:DWORD
	v_mul_u32_u24_sdwa v32, v119, v34 dst_sel:DWORD dst_unused:UNUSED_PAD src0_sel:WORD_0 src1_sel:DWORD
	v_add_f16_e32 v26, v26, v31
	v_fmac_f16_e32 v52, -0.5, v35
	v_lshrrev_b32_e32 v84, 19, v30
	v_lshrrev_b32_e32 v86, 19, v32
	v_mul_u32_u24_sdwa v35, v216, v34 dst_sel:DWORD dst_unused:UNUSED_PAD src0_sel:WORD_0 src1_sel:DWORD
	v_pack_b32_f16 v55, v26, v27
	v_fmamk_f16 v26, v53, 0x3aee, v51
	v_fmamk_f16 v27, v54, 0xbaee, v52
	v_mul_lo_u16 v30, v84, 9
	v_mul_lo_u16 v32, v86, 9
	v_lshrrev_b32_e32 v88, 19, v35
	v_fmac_f16_e32 v51, 0xbaee, v53
	v_pack_b32_f16 v56, v26, v27
	v_mul_u32_u24_sdwa v26, v77, v34 dst_sel:DWORD dst_unused:UNUSED_PAD src0_sel:WORD_0 src1_sel:DWORD
	v_sub_nc_u16 v85, v217, v30
	v_sub_nc_u16 v87, v119, v32
	v_mul_u32_u24_sdwa v34, v214, v34 dst_sel:DWORD dst_unused:UNUSED_PAD src0_sel:WORD_0 src1_sel:DWORD
	v_fmac_f16_e32 v52, 0x3aee, v54
	v_lshrrev_b32_e32 v57, 19, v26
	v_lshlrev_b16 v30, 3, v85
	v_lshlrev_b16 v32, 3, v87
	v_lshrrev_b32_e32 v90, 19, v34
	v_mul_lo_u16 v34, v88, 9
	v_mul_lo_u16 v26, v57, 9
	v_and_b32_e32 v30, 0xffff, v30
	v_and_b32_e32 v32, 0xffff, v32
	v_pack_b32_f16 v47, v51, v52
	v_sub_nc_u16 v91, v216, v34
	v_sub_nc_u16 v75, v77, v26
	v_mul_lo_u16 v34, v89, 9
	v_lshlrev_b16 v26, 3, v75
	v_sub_nc_u16 v92, v215, v34
	v_mul_lo_u16 v34, v90, 9
	v_and_b32_e32 v26, 0xffff, v26
	v_lshlrev_b16 v35, 3, v92
	v_sub_nc_u16 v93, v214, v34
	v_lshlrev_b16 v34, 3, v91
	v_add_co_u32 v26, s0, s18, v26
	v_add_co_ci_u32_e64 v27, null, s19, 0, s0
	v_add_co_u32 v28, s0, s18, v28
	v_add_co_ci_u32_e64 v29, null, s19, 0, s0
	global_load_dwordx2 v[26:27], v[26:27], off offset:24
	v_add_co_u32 v30, s0, s18, v30
	global_load_dwordx2 v[28:29], v[28:29], off offset:24
	v_add_co_ci_u32_e64 v31, null, s19, 0, s0
	v_add_co_u32 v32, s0, s18, v32
	v_add_co_ci_u32_e64 v33, null, s19, 0, s0
	global_load_dwordx2 v[30:31], v[30:31], off offset:24
	v_and_b32_e32 v36, 0xffff, v35
	v_lshlrev_b16 v35, 3, v93
	global_load_dwordx2 v[32:33], v[32:33], off offset:24
	v_and_b32_e32 v34, 0xffff, v34
	v_and_b32_e32 v38, 0xffff, v35
	v_add_co_u32 v34, s0, s18, v34
	v_add_co_ci_u32_e64 v35, null, s19, 0, s0
	v_add_co_u32 v36, s0, s18, v36
	v_add_co_ci_u32_e64 v37, null, s19, 0, s0
	;; [unrolled: 2-line block ×3, first 2 shown]
	s_clause 0x2
	global_load_dwordx2 v[34:35], v[34:35], off offset:24
	global_load_dwordx2 v[36:37], v[36:37], off offset:24
	;; [unrolled: 1-line block ×3, first 2 shown]
	ds_read_b32 v94, v131 offset:25272
	ds_read2_b32 v[60:61], v160 offset0:6 offset1:249
	ds_read2_b32 v[62:63], v162 offset0:12 offset1:255
	;; [unrolled: 1-line block ×8, first 2 shown]
	ds_read2_b32 v[80:81], v140 offset1:243
	s_waitcnt vmcnt(0) lgkmcnt(0)
	s_barrier
	buffer_gl0_inv
	ds_write2_b32 v187, v55, v56 offset1:9
	ds_write_b32 v187, v47 offset:72
	ds_write2_b32 v196, v44, v45 offset1:9
	ds_write_b32 v196, v41 offset:72
	v_lshrrev_b32_e32 v51, 16, v61
	v_lshrrev_b32_e32 v45, 16, v62
	;; [unrolled: 1-line block ×4, first 2 shown]
	v_mul_f16_sdwa v44, v43, v26 dst_sel:DWORD dst_unused:UNUSED_PAD src0_sel:DWORD src1_sel:WORD_1
	v_mul_f16_sdwa v49, v62, v27 dst_sel:DWORD dst_unused:UNUSED_PAD src0_sel:DWORD src1_sel:WORD_1
	;; [unrolled: 1-line block ×5, first 2 shown]
	v_fma_f16 v44, v42, v26, -v44
	v_mul_f16_sdwa v42, v42, v26 dst_sel:DWORD dst_unused:UNUSED_PAD src0_sel:DWORD src1_sel:WORD_1
	v_fmac_f16_e32 v49, v45, v27
	v_mul_f16_sdwa v45, v64, v28 dst_sel:DWORD dst_unused:UNUSED_PAD src0_sel:DWORD src1_sel:WORD_1
	v_fma_f16 v48, v63, v29, -v48
	v_fmac_f16_e32 v50, v47, v29
	v_fmac_f16_e32 v42, v43, v26
	v_lshrrev_b32_e32 v43, 16, v64
	v_fma_f16 v46, v62, v27, -v46
	v_add_f16_e32 v55, v60, v44
	v_add_f16_e32 v56, v54, v42
	v_fmac_f16_e32 v45, v43, v28
	v_mul_f16_sdwa v43, v43, v28 dst_sel:DWORD dst_unused:UNUSED_PAD src0_sel:DWORD src1_sel:WORD_1
	v_add_f16_e32 v55, v55, v46
	v_add_f16_e32 v53, v51, v45
	v_fma_f16 v43, v64, v28, -v43
	v_add_f16_e32 v47, v43, v48
	v_add_f16_e32 v52, v61, v43
	v_sub_f16_e32 v43, v43, v48
	v_fmac_f16_e32 v61, -0.5, v47
	v_add_f16_e32 v47, v45, v50
	v_sub_f16_e32 v45, v45, v50
	v_add_f16_e32 v41, v52, v48
	v_fmac_f16_e32 v51, -0.5, v47
	v_fmamk_f16 v47, v45, 0x3aee, v61
	v_fmac_f16_e32 v61, 0xbaee, v45
	v_fmamk_f16 v45, v43, 0xbaee, v51
	v_fmac_f16_e32 v51, 0x3aee, v43
	v_add_f16_e32 v43, v44, v46
	v_sub_f16_e32 v44, v44, v46
	v_mad_u16 v46, v57, 27, v75
	v_pack_b32_f16 v51, v61, v51
	v_fma_f16 v43, -0.5, v43, v60
	v_add_f16_e32 v60, v42, v49
	v_sub_f16_e32 v42, v42, v49
	v_add_f16_e32 v49, v56, v49
	v_lshlrev_b32_sdwa v199, v76, v46 dst_sel:DWORD dst_unused:UNUSED_PAD src0_sel:DWORD src1_sel:WORD_0
	v_fmac_f16_e32 v54, -0.5, v60
	v_pack_b32_f16 v49, v55, v49
	v_fmamk_f16 v55, v42, 0x3aee, v43
	v_fmac_f16_e32 v43, 0xbaee, v42
	v_fmamk_f16 v56, v44, 0xbaee, v54
	v_fmac_f16_e32 v54, 0x3aee, v44
	v_add_f16_e32 v42, v53, v50
	v_mad_u16 v44, v82, 27, v83
	v_pack_b32_f16 v55, v55, v56
	v_pack_b32_f16 v43, v43, v54
	v_pack_b32_f16 v41, v41, v42
	v_pack_b32_f16 v42, v47, v45
	v_lshlrev_b32_sdwa v197, v76, v44 dst_sel:DWORD dst_unused:UNUSED_PAD src0_sel:DWORD src1_sel:WORD_0
	ds_write2_b32 v199, v49, v55 offset1:9
	ds_write_b32 v199, v43 offset:72
	v_mul_f16_sdwa v43, v65, v30 dst_sel:DWORD dst_unused:UNUSED_PAD src0_sel:DWORD src1_sel:WORD_1
	v_mul_f16_sdwa v44, v68, v31 dst_sel:DWORD dst_unused:UNUSED_PAD src0_sel:DWORD src1_sel:WORD_1
	ds_write2_b32 v197, v41, v42 offset1:9
	v_lshrrev_b32_e32 v41, 16, v65
	v_lshrrev_b32_e32 v45, 16, v66
	ds_write_b32 v197, v51 offset:72
	v_mul_f16_sdwa v42, v41, v30 dst_sel:DWORD dst_unused:UNUSED_PAD src0_sel:DWORD src1_sel:WORD_1
	v_fmac_f16_e32 v43, v41, v30
	v_lshrrev_b32_e32 v41, 16, v68
	v_fma_f16 v42, v65, v30, -v42
	v_add_f16_e32 v46, v45, v43
	v_fmac_f16_e32 v44, v41, v31
	v_mul_f16_sdwa v41, v41, v31 dst_sel:DWORD dst_unused:UNUSED_PAD src0_sel:DWORD src1_sel:WORD_1
	v_add_f16_e32 v47, v43, v44
	v_sub_f16_e32 v43, v43, v44
	v_add_f16_e32 v44, v46, v44
	v_fma_f16 v41, v68, v31, -v41
	v_add_f16_e32 v46, v66, v42
	v_fmac_f16_e32 v45, -0.5, v47
	v_add_f16_e32 v47, v42, v41
	v_add_f16_e32 v46, v46, v41
	v_sub_f16_e32 v41, v42, v41
	v_mad_u16 v42, v84, 27, v85
	v_pack_b32_f16 v44, v46, v44
	v_fma_f16 v46, -0.5, v47, v66
	v_fmamk_f16 v48, v41, 0xbaee, v45
	v_lshlrev_b32_sdwa v198, v76, v42 dst_sel:DWORD dst_unused:UNUSED_PAD src0_sel:DWORD src1_sel:WORD_0
	v_lshrrev_b32_e32 v42, 16, v69
	v_fmac_f16_e32 v45, 0x3aee, v41
	v_fmamk_f16 v47, v43, 0x3aee, v46
	v_lshrrev_b32_e32 v41, 16, v70
	v_fmac_f16_e32 v46, 0xbaee, v43
	v_pack_b32_f16 v47, v47, v48
	v_lshrrev_b32_e32 v48, 16, v67
	v_pack_b32_f16 v45, v46, v45
	ds_write2_b32 v198, v44, v47 offset1:9
	v_mul_f16_sdwa v47, v69, v33 dst_sel:DWORD dst_unused:UNUSED_PAD src0_sel:DWORD src1_sel:WORD_1
	v_mul_f16_sdwa v44, v42, v33 dst_sel:DWORD dst_unused:UNUSED_PAD src0_sel:DWORD src1_sel:WORD_1
	ds_write_b32 v198, v45 offset:72
	v_fmac_f16_e32 v47, v42, v33
	v_mul_f16_sdwa v42, v70, v32 dst_sel:DWORD dst_unused:UNUSED_PAD src0_sel:DWORD src1_sel:WORD_1
	v_fma_f16 v44, v69, v33, -v44
	v_fmac_f16_e32 v42, v41, v32
	v_mul_f16_sdwa v41, v41, v32 dst_sel:DWORD dst_unused:UNUSED_PAD src0_sel:DWORD src1_sel:WORD_1
	v_add_f16_e32 v50, v42, v47
	v_fma_f16 v41, v70, v32, -v41
	v_add_f16_e32 v43, v41, v44
	v_add_f16_e32 v49, v67, v41
	v_sub_f16_e32 v41, v41, v44
	v_fmac_f16_e32 v67, -0.5, v43
	v_add_f16_e32 v43, v48, v42
	v_sub_f16_e32 v42, v42, v47
	v_fmac_f16_e32 v48, -0.5, v50
	v_add_f16_e32 v46, v49, v44
	v_mad_u16 v44, v86, 27, v87
	v_add_f16_e32 v43, v43, v47
	v_fmamk_f16 v45, v42, 0x3aee, v67
	v_fmac_f16_e32 v67, 0xbaee, v42
	v_lshrrev_b32_e32 v42, 16, v71
	v_lshlrev_b32_sdwa v200, v76, v44 dst_sel:DWORD dst_unused:UNUSED_PAD src0_sel:DWORD src1_sel:WORD_0
	v_pack_b32_f16 v43, v46, v43
	v_fmamk_f16 v46, v41, 0xbaee, v48
	v_mul_f16_sdwa v44, v71, v34 dst_sel:DWORD dst_unused:UNUSED_PAD src0_sel:DWORD src1_sel:WORD_1
	v_fmac_f16_e32 v48, 0x3aee, v41
	v_pack_b32_f16 v45, v45, v46
	v_fmac_f16_e32 v44, v42, v34
	v_lshrrev_b32_e32 v46, 16, v73
	v_pack_b32_f16 v41, v67, v48
	ds_write2_b32 v200, v43, v45 offset1:9
	v_mul_f16_sdwa v43, v42, v34 dst_sel:DWORD dst_unused:UNUSED_PAD src0_sel:DWORD src1_sel:WORD_1
	v_lshrrev_b32_e32 v42, 16, v78
	v_mul_f16_sdwa v45, v78, v35 dst_sel:DWORD dst_unused:UNUSED_PAD src0_sel:DWORD src1_sel:WORD_1
	v_add_f16_e32 v47, v46, v44
	ds_write_b32 v200, v41 offset:72
	v_fma_f16 v43, v71, v34, -v43
	v_mad_u16 v41, v88, 27, v91
	v_fmac_f16_e32 v45, v42, v35
	v_mul_f16_sdwa v42, v42, v35 dst_sel:DWORD dst_unused:UNUSED_PAD src0_sel:DWORD src1_sel:WORD_1
	v_lshlrev_b32_sdwa v201, v76, v41 dst_sel:DWORD dst_unused:UNUSED_PAD src0_sel:DWORD src1_sel:WORD_0
	v_add_f16_e32 v48, v44, v45
	v_sub_f16_e32 v44, v44, v45
	v_add_f16_e32 v45, v47, v45
	v_fma_f16 v42, v78, v35, -v42
	v_add_f16_e32 v47, v73, v43
	v_fmac_f16_e32 v46, -0.5, v48
	v_lshrrev_b32_e32 v41, 16, v79
	v_add_f16_e32 v48, v43, v42
	v_add_f16_e32 v47, v47, v42
	v_sub_f16_e32 v42, v43, v42
	v_pack_b32_f16 v43, v47, v45
	v_fma_f16 v45, -0.5, v48, v73
	v_fmamk_f16 v48, v42, 0xbaee, v46
	v_fmac_f16_e32 v46, 0x3aee, v42
	v_mul_f16_sdwa v42, v80, v36 dst_sel:DWORD dst_unused:UNUSED_PAD src0_sel:DWORD src1_sel:WORD_1
	v_fmamk_f16 v47, v44, 0x3aee, v45
	v_fmac_f16_e32 v45, 0xbaee, v44
	v_pack_b32_f16 v47, v47, v48
	v_lshrrev_b32_e32 v48, 16, v74
	v_pack_b32_f16 v45, v45, v46
	ds_write2_b32 v201, v43, v47 offset1:9
	v_mul_f16_sdwa v47, v79, v37 dst_sel:DWORD dst_unused:UNUSED_PAD src0_sel:DWORD src1_sel:WORD_1
	v_mul_f16_sdwa v43, v41, v37 dst_sel:DWORD dst_unused:UNUSED_PAD src0_sel:DWORD src1_sel:WORD_1
	ds_write_b32 v201, v45 offset:72
	v_fmac_f16_e32 v47, v41, v37
	v_lshrrev_b32_e32 v41, 16, v80
	v_fma_f16 v43, v79, v37, -v43
	v_fmac_f16_e32 v42, v41, v36
	v_mul_f16_sdwa v41, v41, v36 dst_sel:DWORD dst_unused:UNUSED_PAD src0_sel:DWORD src1_sel:WORD_1
	v_add_f16_e32 v50, v42, v47
	v_fma_f16 v41, v80, v36, -v41
	v_add_f16_e32 v44, v41, v43
	v_add_f16_e32 v49, v74, v41
	v_sub_f16_e32 v41, v41, v43
	v_fmac_f16_e32 v74, -0.5, v44
	v_add_f16_e32 v44, v48, v42
	v_sub_f16_e32 v42, v42, v47
	v_fmac_f16_e32 v48, -0.5, v50
	v_add_f16_e32 v46, v49, v43
	v_mad_u16 v43, v89, 27, v92
	v_add_f16_e32 v44, v44, v47
	v_fmamk_f16 v45, v42, 0x3aee, v74
	v_fmac_f16_e32 v74, 0xbaee, v42
	v_lshrrev_b32_e32 v42, 16, v81
	v_lshlrev_b32_sdwa v202, v76, v43 dst_sel:DWORD dst_unused:UNUSED_PAD src0_sel:DWORD src1_sel:WORD_0
	v_pack_b32_f16 v44, v46, v44
	v_fmamk_f16 v46, v41, 0xbaee, v48
	v_fmac_f16_e32 v48, 0x3aee, v41
	v_mul_f16_sdwa v43, v42, v38 dst_sel:DWORD dst_unused:UNUSED_PAD src0_sel:DWORD src1_sel:WORD_1
	v_lshrrev_b32_e32 v47, 16, v40
	v_pack_b32_f16 v45, v45, v46
	v_mul_f16_sdwa v46, v94, v39 dst_sel:DWORD dst_unused:UNUSED_PAD src0_sel:DWORD src1_sel:WORD_1
	v_fma_f16 v43, v81, v38, -v43
	v_pack_b32_f16 v41, v74, v48
	ds_write2_b32 v202, v44, v45 offset1:9
	v_mul_f16_sdwa v44, v81, v38 dst_sel:DWORD dst_unused:UNUSED_PAD src0_sel:DWORD src1_sel:WORD_1
	v_add_f16_e32 v48, v40, v43
	ds_write_b32 v202, v41 offset:72
	v_fmac_f16_e32 v44, v42, v38
	v_lshrrev_b32_e32 v42, 16, v94
	v_mul_f16_sdwa v45, v42, v39 dst_sel:DWORD dst_unused:UNUSED_PAD src0_sel:DWORD src1_sel:WORD_1
	v_fmac_f16_e32 v46, v42, v39
	v_fma_f16 v45, v94, v39, -v45
	v_add_f16_e32 v42, v43, v45
	v_fmac_f16_e32 v40, -0.5, v42
	v_sub_f16_e32 v42, v44, v46
	v_fmamk_f16 v49, v42, 0x3aee, v40
	v_fmac_f16_e32 v40, 0xbaee, v42
	v_add_f16_e32 v42, v44, v46
	v_add_f16_e32 v44, v47, v44
	v_fmac_f16_e32 v47, -0.5, v42
	v_sub_f16_e32 v42, v43, v45
	v_add_f16_e32 v44, v44, v46
	v_fmamk_f16 v43, v42, 0xbaee, v47
	v_fmac_f16_e32 v47, 0x3aee, v42
	v_add_f16_e32 v42, v48, v45
	v_mad_u16 v45, v90, 27, v93
	v_pack_b32_f16 v40, v40, v47
	v_pack_b32_f16 v41, v42, v44
	;; [unrolled: 1-line block ×3, first 2 shown]
	v_lshlrev_b32_sdwa v203, v76, v45 dst_sel:DWORD dst_unused:UNUSED_PAD src0_sel:DWORD src1_sel:WORD_0
	ds_write2_b32 v203, v41, v42 offset1:9
	ds_write_b32 v203, v40 offset:72
	v_mov_b32_e32 v40, 0x2f69
	s_waitcnt lgkmcnt(0)
	s_barrier
	buffer_gl0_inv
	ds_read2_b32 v[60:61], v173 offset0:8 offset1:251
	v_mul_u32_u24_sdwa v41, v72, v40 dst_sel:DWORD dst_unused:UNUSED_PAD src0_sel:WORD_0 src1_sel:DWORD
	ds_read2_b32 v[62:63], v172 offset0:6 offset1:249
	ds_read2_b32 v[64:65], v131 offset1:243
	v_lshrrev_b32_e32 v41, 16, v41
	v_sub_nc_u16 v42, v72, v41
	v_lshrrev_b16 v42, 1, v42
	v_add_nc_u16 v42, v42, v41
	v_mul_u32_u24_sdwa v41, v77, v40 dst_sel:DWORD dst_unused:UNUSED_PAD src0_sel:WORD_0 src1_sel:DWORD
	s_waitcnt lgkmcnt(1)
	v_lshrrev_b32_e32 v47, 16, v62
	s_waitcnt lgkmcnt(0)
	v_lshrrev_b32_e32 v75, 16, v64
	v_lshrrev_b16 v92, 4, v42
	v_lshrrev_b32_e32 v41, 16, v41
	v_mul_lo_u16 v42, v92, 27
	v_sub_nc_u16 v43, v77, v41
	v_sub_nc_u16 v93, v72, v42
	v_lshrrev_b16 v43, 1, v43
	v_lshlrev_b16 v42, 3, v93
	v_add_nc_u16 v44, v43, v41
	v_mul_u32_u24_sdwa v41, v110, v40 dst_sel:DWORD dst_unused:UNUSED_PAD src0_sel:WORD_0 src1_sel:DWORD
	v_and_b32_e32 v42, 0xffff, v42
	v_lshrrev_b16 v94, 4, v44
	v_lshrrev_b32_e32 v41, 16, v41
	v_add_co_u32 v42, s0, s18, v42
	v_sub_nc_u16 v43, v110, v41
	v_mul_lo_u16 v44, v94, 27
	v_lshrrev_b16 v43, 1, v43
	v_sub_nc_u16 v95, v77, v44
	v_add_nc_u16 v46, v43, v41
	v_mul_u32_u24_sdwa v41, v217, v40 dst_sel:DWORD dst_unused:UNUSED_PAD src0_sel:WORD_0 src1_sel:DWORD
	v_lshlrev_b16 v44, 3, v95
	v_lshrrev_b16 v96, 4, v46
	v_lshrrev_b32_e32 v41, 16, v41
	v_and_b32_e32 v44, 0xffff, v44
	v_mul_lo_u16 v46, v96, 27
	v_sub_nc_u16 v43, v217, v41
	v_sub_nc_u16 v97, v110, v46
	v_lshrrev_b16 v43, 1, v43
	v_lshlrev_b16 v46, 3, v97
	v_add_nc_u16 v48, v43, v41
	v_mul_u32_u24_sdwa v41, v119, v40 dst_sel:DWORD dst_unused:UNUSED_PAD src0_sel:WORD_0 src1_sel:DWORD
	v_and_b32_e32 v46, 0xffff, v46
	v_lshrrev_b16 v98, 4, v48
	v_lshrrev_b32_e32 v41, 16, v41
	v_mul_lo_u16 v48, v98, 27
	v_sub_nc_u16 v43, v119, v41
	v_sub_nc_u16 v99, v217, v48
	v_lshrrev_b16 v43, 1, v43
	v_lshlrev_b16 v48, 3, v99
	v_add_nc_u16 v50, v43, v41
	v_mul_u32_u24_sdwa v41, v216, v40 dst_sel:DWORD dst_unused:UNUSED_PAD src0_sel:WORD_0 src1_sel:DWORD
	v_and_b32_e32 v48, 0xffff, v48
	v_lshrrev_b16 v100, 4, v50
	v_lshrrev_b32_e32 v41, 16, v41
	v_mul_lo_u16 v50, v100, 27
	v_sub_nc_u16 v43, v216, v41
	v_sub_nc_u16 v104, v119, v50
	v_lshrrev_b16 v43, 1, v43
	v_add_nc_u16 v51, v43, v41
	v_mul_u32_u24_sdwa v41, v215, v40 dst_sel:DWORD dst_unused:UNUSED_PAD src0_sel:WORD_0 src1_sel:DWORD
	v_mul_u32_u24_sdwa v40, v214, v40 dst_sel:DWORD dst_unused:UNUSED_PAD src0_sel:WORD_0 src1_sel:DWORD
	v_lshrrev_b16 v101, 4, v51
	v_lshrrev_b32_e32 v41, 16, v41
	v_lshrrev_b32_e32 v40, 16, v40
	v_mul_lo_u16 v50, v101, 27
	v_sub_nc_u16 v43, v215, v41
	v_sub_nc_u16 v105, v216, v50
	v_lshrrev_b16 v43, 1, v43
	v_lshlrev_b16 v51, 3, v105
	v_add_nc_u16 v52, v43, v41
	v_sub_nc_u16 v41, v214, v40
	v_lshrrev_b32_e32 v43, 16, v61
	v_lshrrev_b16 v102, 4, v52
	v_lshrrev_b16 v41, 1, v41
	v_and_b32_e32 v52, 0xffff, v51
	v_mul_lo_u16 v50, v102, 27
	v_add_nc_u16 v53, v41, v40
	v_mul_lo_u16 v40, v59, 19
	v_mov_b32_e32 v41, 0x51
	v_mul_lo_u16 v59, 0xcb, v59
	v_sub_nc_u16 v106, v215, v50
	v_lshrrev_b16 v103, 4, v53
	v_lshrrev_b16 v40, 9, v40
	;; [unrolled: 1-line block ×3, first 2 shown]
	v_lshlrev_b16 v51, 3, v106
	v_mul_lo_u16 v50, v103, 27
	v_mul_u32_u24_sdwa v41, v40, v41 dst_sel:DWORD dst_unused:UNUSED_PAD src0_sel:WORD_0 src1_sel:DWORD
	v_mul_lo_u16 v40, v40, 27
	v_sub_nc_u16 v107, v214, v50
	v_lshlrev_b16 v50, 3, v104
	v_sub_nc_u16 v40, v58, v40
	v_and_b32_e32 v50, 0xffff, v50
	v_and_b32_e32 v40, 0xff, v40
	v_add_lshl_u32 v204, v41, v40, 2
	v_lshlrev_b32_e32 v40, 3, v40
	global_load_dwordx2 v[40:41], v40, s[18:19] offset:96
	s_waitcnt vmcnt(0)
	v_mul_f16_sdwa v45, v61, v40 dst_sel:DWORD dst_unused:UNUSED_PAD src0_sel:DWORD src1_sel:WORD_1
	v_mul_f16_sdwa v49, v62, v41 dst_sel:DWORD dst_unused:UNUSED_PAD src0_sel:DWORD src1_sel:WORD_1
	v_fmac_f16_e32 v45, v43, v40
	v_fmac_f16_e32 v49, v47, v41
	v_mul_f16_sdwa v43, v43, v40 dst_sel:DWORD dst_unused:UNUSED_PAD src0_sel:DWORD src1_sel:WORD_1
	v_mul_f16_sdwa v47, v47, v41 dst_sel:DWORD dst_unused:UNUSED_PAD src0_sel:DWORD src1_sel:WORD_1
	v_add_f16_e32 v54, v75, v45
	v_sub_f16_e32 v88, v45, v49
	v_fma_f16 v43, v61, v40, -v43
	v_fma_f16 v47, v62, v41, -v47
	v_add_f16_e32 v45, v45, v49
	v_add_f16_e32 v49, v54, v49
	;; [unrolled: 1-line block ×4, first 2 shown]
	v_sub_f16_e32 v89, v43, v47
	v_fmac_f16_e32 v75, -0.5, v45
	v_add_f16_e32 v54, v54, v47
	v_fma_f16 v64, -0.5, v55, v64
	v_fmamk_f16 v45, v89, 0xbaee, v75
	v_fmac_f16_e32 v75, 0x3aee, v89
	v_pack_b32_f16 v90, v54, v49
	v_fmamk_f16 v43, v88, 0x3aee, v64
	v_and_b32_e32 v54, 0xffff, v51
	v_lshlrev_b16 v51, 3, v107
	v_fmac_f16_e32 v64, 0xbaee, v88
	v_pack_b32_f16 v91, v43, v45
	v_add_co_ci_u32_e64 v43, null, s19, 0, s0
	v_add_co_u32 v44, s0, s18, v44
	v_add_co_ci_u32_e64 v45, null, s19, 0, s0
	global_load_dwordx2 v[42:43], v[42:43], off offset:96
	v_add_co_u32 v46, s0, s18, v46
	global_load_dwordx2 v[44:45], v[44:45], off offset:96
	v_add_co_ci_u32_e64 v47, null, s19, 0, s0
	v_add_co_u32 v48, s0, s18, v48
	v_add_co_ci_u32_e64 v49, null, s19, 0, s0
	global_load_dwordx2 v[46:47], v[46:47], off offset:96
	v_add_co_u32 v50, s0, s18, v50
	global_load_dwordx2 v[48:49], v[48:49], off offset:96
	v_and_b32_e32 v56, 0xffff, v51
	v_add_co_ci_u32_e64 v51, null, s19, 0, s0
	v_add_co_u32 v52, s0, s18, v52
	v_add_co_ci_u32_e64 v53, null, s19, 0, s0
	v_add_co_u32 v54, s0, s18, v54
	;; [unrolled: 2-line block ×3, first 2 shown]
	v_add_co_ci_u32_e64 v57, null, s19, 0, s0
	s_clause 0x3
	global_load_dwordx2 v[50:51], v[50:51], off offset:96
	global_load_dwordx2 v[52:53], v[52:53], off offset:96
	;; [unrolled: 1-line block ×4, first 2 shown]
	ds_read_b32 v108, v131 offset:25272
	ds_read2_b32 v[61:62], v166 offset0:6 offset1:249
	ds_read2_b32 v[66:67], v160 offset0:6 offset1:249
	;; [unrolled: 1-line block ×9, first 2 shown]
	ds_read2_b32 v[86:87], v140 offset1:243
	s_waitcnt vmcnt(0) lgkmcnt(0)
	s_barrier
	buffer_gl0_inv
	ds_write2_b32 v204, v90, v91 offset1:27
	v_lshrrev_b32_e32 v90, 16, v63
	v_pack_b32_f16 v64, v64, v75
	v_lshrrev_b32_e32 v88, 16, v61
	ds_write_b32 v204, v64 offset:216
	v_mad_u16 v64, 0x51, v92, v93
	v_lshlrev_b32_sdwa v205, v76, v64 dst_sel:DWORD dst_unused:UNUSED_PAD src0_sel:DWORD src1_sel:WORD_0
	v_mul_f16_sdwa v89, v61, v42 dst_sel:DWORD dst_unused:UNUSED_PAD src0_sel:DWORD src1_sel:WORD_1
	v_mul_f16_sdwa v91, v90, v43 dst_sel:DWORD dst_unused:UNUSED_PAD src0_sel:DWORD src1_sel:WORD_1
	v_fmac_f16_e32 v89, v88, v42
	v_mul_f16_sdwa v88, v88, v42 dst_sel:DWORD dst_unused:UNUSED_PAD src0_sel:DWORD src1_sel:WORD_1
	v_fma_f16 v91, v63, v43, -v91
	v_mul_f16_sdwa v63, v63, v43 dst_sel:DWORD dst_unused:UNUSED_PAD src0_sel:DWORD src1_sel:WORD_1
	v_fma_f16 v61, v61, v42, -v88
	v_fmac_f16_e32 v63, v90, v43
	v_lshrrev_b32_e32 v90, 16, v65
	v_add_f16_e32 v88, v61, v91
	v_add_f16_e32 v109, v65, v61
	;; [unrolled: 1-line block ×3, first 2 shown]
	v_sub_f16_e32 v61, v61, v91
	v_fmac_f16_e32 v65, -0.5, v88
	v_add_f16_e32 v88, v90, v89
	v_sub_f16_e32 v89, v89, v63
	v_fmac_f16_e32 v90, -0.5, v111
	v_add_f16_e32 v75, v109, v91
	v_add_f16_e32 v63, v88, v63
	v_fmamk_f16 v88, v61, 0xbaee, v90
	v_fmac_f16_e32 v90, 0x3aee, v61
	v_pack_b32_f16 v63, v75, v63
	v_fmamk_f16 v75, v89, 0x3aee, v65
	v_fmac_f16_e32 v65, 0xbaee, v89
	v_pack_b32_f16 v75, v75, v88
	v_pack_b32_f16 v61, v65, v90
	v_mul_f16_sdwa v65, v68, v45 dst_sel:DWORD dst_unused:UNUSED_PAD src0_sel:DWORD src1_sel:WORD_1
	ds_write2_b32 v205, v63, v75 offset1:27
	v_lshrrev_b32_e32 v63, 16, v62
	v_lshrrev_b32_e32 v75, 16, v66
	ds_write_b32 v205, v61 offset:216
	v_mad_u16 v61, 0x51, v94, v95
	v_mul_f16_sdwa v64, v63, v44 dst_sel:DWORD dst_unused:UNUSED_PAD src0_sel:DWORD src1_sel:WORD_1
	v_lshlrev_b32_sdwa v206, v76, v61 dst_sel:DWORD dst_unused:UNUSED_PAD src0_sel:DWORD src1_sel:WORD_0
	v_lshrrev_b32_e32 v61, 16, v69
	v_fma_f16 v64, v62, v44, -v64
	v_mul_f16_sdwa v62, v62, v44 dst_sel:DWORD dst_unused:UNUSED_PAD src0_sel:DWORD src1_sel:WORD_1
	v_fmac_f16_e32 v62, v63, v44
	v_lshrrev_b32_e32 v63, 16, v68
	v_add_f16_e32 v88, v75, v62
	v_fmac_f16_e32 v65, v63, v45
	v_mul_f16_sdwa v63, v63, v45 dst_sel:DWORD dst_unused:UNUSED_PAD src0_sel:DWORD src1_sel:WORD_1
	v_add_f16_e32 v89, v62, v65
	v_fma_f16 v63, v68, v45, -v63
	v_add_f16_e32 v68, v66, v64
	v_sub_f16_e32 v62, v62, v65
	v_add_f16_e32 v65, v88, v65
	v_fmac_f16_e32 v75, -0.5, v89
	v_add_f16_e32 v88, v64, v63
	v_add_f16_e32 v68, v68, v63
	v_sub_f16_e32 v63, v64, v63
	v_pack_b32_f16 v64, v68, v65
	v_fma_f16 v65, -0.5, v88, v66
	v_fmamk_f16 v68, v63, 0xbaee, v75
	v_fmac_f16_e32 v75, 0x3aee, v63
	v_fmamk_f16 v66, v62, 0x3aee, v65
	v_fmac_f16_e32 v65, 0xbaee, v62
	v_mul_f16_sdwa v62, v70, v46 dst_sel:DWORD dst_unused:UNUSED_PAD src0_sel:DWORD src1_sel:WORD_1
	v_pack_b32_f16 v66, v66, v68
	v_lshrrev_b32_e32 v68, 16, v67
	v_pack_b32_f16 v65, v65, v75
	v_mov_b32_e32 v75, 0x6523
	ds_write2_b32 v206, v64, v66 offset1:27
	v_mul_f16_sdwa v66, v69, v47 dst_sel:DWORD dst_unused:UNUSED_PAD src0_sel:DWORD src1_sel:WORD_1
	v_mul_f16_sdwa v64, v61, v47 dst_sel:DWORD dst_unused:UNUSED_PAD src0_sel:DWORD src1_sel:WORD_1
	ds_write_b32 v206, v65 offset:216
	v_fmac_f16_e32 v66, v61, v47
	v_lshrrev_b32_e32 v61, 16, v70
	v_fma_f16 v64, v69, v47, -v64
	v_fmac_f16_e32 v62, v61, v46
	v_mul_f16_sdwa v61, v61, v46 dst_sel:DWORD dst_unused:UNUSED_PAD src0_sel:DWORD src1_sel:WORD_1
	v_fma_f16 v61, v70, v46, -v61
	v_add_f16_e32 v70, v62, v66
	v_add_f16_e32 v63, v61, v64
	;; [unrolled: 1-line block ×3, first 2 shown]
	v_sub_f16_e32 v61, v61, v64
	v_fmac_f16_e32 v67, -0.5, v63
	v_add_f16_e32 v63, v68, v62
	v_sub_f16_e32 v62, v62, v66
	v_fmac_f16_e32 v68, -0.5, v70
	v_add_f16_e32 v63, v63, v66
	v_add_f16_e32 v66, v69, v64
	v_mad_u16 v64, 0x51, v96, v97
	v_fmamk_f16 v65, v62, 0x3aee, v67
	v_fmac_f16_e32 v67, 0xbaee, v62
	v_lshrrev_b32_e32 v62, 16, v71
	v_pack_b32_f16 v63, v66, v63
	v_fmamk_f16 v66, v61, 0xbaee, v68
	v_lshlrev_b32_sdwa v207, v76, v64 dst_sel:DWORD dst_unused:UNUSED_PAD src0_sel:DWORD src1_sel:WORD_0
	v_mul_f16_sdwa v64, v71, v48 dst_sel:DWORD dst_unused:UNUSED_PAD src0_sel:DWORD src1_sel:WORD_1
	v_fmac_f16_e32 v68, 0x3aee, v61
	v_pack_b32_f16 v65, v65, v66
	v_lshrrev_b32_e32 v66, 16, v73
	v_fmac_f16_e32 v64, v62, v48
	v_pack_b32_f16 v61, v67, v68
	ds_write2_b32 v207, v63, v65 offset1:27
	v_mul_f16_sdwa v63, v62, v48 dst_sel:DWORD dst_unused:UNUSED_PAD src0_sel:DWORD src1_sel:WORD_1
	v_lshrrev_b32_e32 v62, 16, v78
	v_mul_f16_sdwa v65, v78, v49 dst_sel:DWORD dst_unused:UNUSED_PAD src0_sel:DWORD src1_sel:WORD_1
	v_add_f16_e32 v67, v66, v64
	ds_write_b32 v207, v61 offset:216
	v_fma_f16 v63, v71, v48, -v63
	v_mad_u16 v61, 0x51, v98, v99
	v_fmac_f16_e32 v65, v62, v49
	v_mul_f16_sdwa v62, v62, v49 dst_sel:DWORD dst_unused:UNUSED_PAD src0_sel:DWORD src1_sel:WORD_1
	v_lshlrev_b32_sdwa v208, v76, v61 dst_sel:DWORD dst_unused:UNUSED_PAD src0_sel:DWORD src1_sel:WORD_0
	v_add_f16_e32 v68, v64, v65
	v_sub_f16_e32 v64, v64, v65
	v_add_f16_e32 v65, v67, v65
	v_fma_f16 v62, v78, v49, -v62
	v_add_f16_e32 v67, v73, v63
	v_fmac_f16_e32 v66, -0.5, v68
	v_lshrrev_b32_e32 v61, 16, v79
	v_add_f16_e32 v68, v63, v62
	v_add_f16_e32 v67, v67, v62
	v_sub_f16_e32 v62, v63, v62
	v_pack_b32_f16 v63, v67, v65
	v_fma_f16 v65, -0.5, v68, v73
	v_fmamk_f16 v68, v62, 0xbaee, v66
	v_fmac_f16_e32 v66, 0x3aee, v62
	v_mul_f16_sdwa v62, v80, v50 dst_sel:DWORD dst_unused:UNUSED_PAD src0_sel:DWORD src1_sel:WORD_1
	v_fmamk_f16 v67, v64, 0x3aee, v65
	v_fmac_f16_e32 v65, 0xbaee, v64
	v_pack_b32_f16 v67, v67, v68
	v_lshrrev_b32_e32 v68, 16, v74
	v_pack_b32_f16 v65, v65, v66
	ds_write2_b32 v208, v63, v67 offset1:27
	v_mul_f16_sdwa v67, v79, v51 dst_sel:DWORD dst_unused:UNUSED_PAD src0_sel:DWORD src1_sel:WORD_1
	v_mul_f16_sdwa v63, v61, v51 dst_sel:DWORD dst_unused:UNUSED_PAD src0_sel:DWORD src1_sel:WORD_1
	ds_write_b32 v208, v65 offset:216
	v_fmac_f16_e32 v67, v61, v51
	v_lshrrev_b32_e32 v61, 16, v80
	v_fma_f16 v63, v79, v51, -v63
	v_mul_u32_u24_sdwa v79, v215, v75 dst_sel:DWORD dst_unused:UNUSED_PAD src0_sel:WORD_0 src1_sel:DWORD
	v_fmac_f16_e32 v62, v61, v50
	v_mul_f16_sdwa v61, v61, v50 dst_sel:DWORD dst_unused:UNUSED_PAD src0_sel:DWORD src1_sel:WORD_1
	v_lshrrev_b32_e32 v123, 21, v79
	v_add_f16_e32 v70, v62, v67
	v_fma_f16 v61, v80, v50, -v61
	v_add_f16_e32 v64, v61, v63
	v_add_f16_e32 v69, v74, v61
	v_sub_f16_e32 v61, v61, v63
	v_fmac_f16_e32 v74, -0.5, v64
	v_add_f16_e32 v64, v68, v62
	v_sub_f16_e32 v62, v62, v67
	v_fmac_f16_e32 v68, -0.5, v70
	v_add_f16_e32 v66, v69, v63
	v_mad_u16 v63, 0x51, v100, v104
	v_add_f16_e32 v64, v64, v67
	v_fmamk_f16 v65, v62, 0x3aee, v74
	v_fmac_f16_e32 v74, 0xbaee, v62
	v_lshrrev_b32_e32 v62, 16, v81
	v_lshlrev_b32_sdwa v209, v76, v63 dst_sel:DWORD dst_unused:UNUSED_PAD src0_sel:DWORD src1_sel:WORD_0
	v_pack_b32_f16 v64, v66, v64
	v_fmamk_f16 v66, v61, 0xbaee, v68
	v_fmac_f16_e32 v68, 0x3aee, v61
	v_mul_f16_sdwa v63, v62, v52 dst_sel:DWORD dst_unused:UNUSED_PAD src0_sel:DWORD src1_sel:WORD_1
	v_pack_b32_f16 v65, v65, v66
	v_lshrrev_b32_e32 v66, 16, v82
	v_fma_f16 v63, v81, v52, -v63
	v_pack_b32_f16 v61, v74, v68
	ds_write2_b32 v209, v64, v65 offset1:27
	v_mul_f16_sdwa v64, v81, v52 dst_sel:DWORD dst_unused:UNUSED_PAD src0_sel:DWORD src1_sel:WORD_1
	v_mul_f16_sdwa v65, v84, v53 dst_sel:DWORD dst_unused:UNUSED_PAD src0_sel:DWORD src1_sel:WORD_1
	ds_write_b32 v209, v61 offset:216
	v_mad_u16 v61, 0x51, v101, v105
	v_fmac_f16_e32 v64, v62, v52
	v_lshrrev_b32_e32 v62, 16, v84
	v_lshlrev_b32_sdwa v210, v76, v61 dst_sel:DWORD dst_unused:UNUSED_PAD src0_sel:DWORD src1_sel:WORD_0
	v_lshrrev_b32_e32 v61, 16, v85
	v_add_f16_e32 v67, v66, v64
	v_fmac_f16_e32 v65, v62, v53
	v_mul_f16_sdwa v62, v62, v53 dst_sel:DWORD dst_unused:UNUSED_PAD src0_sel:DWORD src1_sel:WORD_1
	v_add_f16_e32 v68, v64, v65
	v_sub_f16_e32 v64, v64, v65
	v_add_f16_e32 v65, v67, v65
	v_fma_f16 v62, v84, v53, -v62
	v_add_f16_e32 v67, v82, v63
	v_fmac_f16_e32 v66, -0.5, v68
	v_add_f16_e32 v68, v63, v62
	v_add_f16_e32 v67, v67, v62
	v_sub_f16_e32 v62, v63, v62
	v_pack_b32_f16 v63, v67, v65
	v_fma_f16 v65, -0.5, v68, v82
	v_fmamk_f16 v68, v62, 0xbaee, v66
	v_fmac_f16_e32 v66, 0x3aee, v62
	v_mul_f16_sdwa v62, v86, v54 dst_sel:DWORD dst_unused:UNUSED_PAD src0_sel:DWORD src1_sel:WORD_1
	v_fmamk_f16 v67, v64, 0x3aee, v65
	v_fmac_f16_e32 v65, 0xbaee, v64
	v_pack_b32_f16 v67, v67, v68
	v_lshrrev_b32_e32 v68, 16, v83
	v_pack_b32_f16 v65, v65, v66
	ds_write2_b32 v210, v63, v67 offset1:27
	v_mul_f16_sdwa v67, v85, v55 dst_sel:DWORD dst_unused:UNUSED_PAD src0_sel:DWORD src1_sel:WORD_1
	v_mul_f16_sdwa v63, v61, v55 dst_sel:DWORD dst_unused:UNUSED_PAD src0_sel:DWORD src1_sel:WORD_1
	ds_write_b32 v210, v65 offset:216
	v_fmac_f16_e32 v67, v61, v55
	v_lshrrev_b32_e32 v61, 16, v86
	v_fma_f16 v63, v85, v55, -v63
	v_fmac_f16_e32 v62, v61, v54
	v_mul_f16_sdwa v61, v61, v54 dst_sel:DWORD dst_unused:UNUSED_PAD src0_sel:DWORD src1_sel:WORD_1
	v_add_f16_e32 v70, v62, v67
	v_fma_f16 v61, v86, v54, -v61
	v_add_f16_e32 v64, v61, v63
	v_add_f16_e32 v69, v83, v61
	v_sub_f16_e32 v61, v61, v63
	v_fmac_f16_e32 v83, -0.5, v64
	v_add_f16_e32 v64, v68, v62
	v_sub_f16_e32 v62, v62, v67
	v_fmac_f16_e32 v68, -0.5, v70
	v_add_f16_e32 v66, v69, v63
	v_mad_u16 v63, 0x51, v102, v106
	v_add_f16_e32 v64, v64, v67
	v_fmamk_f16 v65, v62, 0x3aee, v83
	v_fmac_f16_e32 v83, 0xbaee, v62
	v_lshrrev_b32_e32 v62, 16, v87
	v_lshlrev_b32_sdwa v211, v76, v63 dst_sel:DWORD dst_unused:UNUSED_PAD src0_sel:DWORD src1_sel:WORD_0
	v_pack_b32_f16 v64, v66, v64
	v_fmamk_f16 v66, v61, 0xbaee, v68
	v_fmac_f16_e32 v68, 0x3aee, v61
	v_mul_f16_sdwa v63, v62, v56 dst_sel:DWORD dst_unused:UNUSED_PAD src0_sel:DWORD src1_sel:WORD_1
	v_lshrrev_b32_e32 v67, 16, v60
	v_mul_u32_u24_sdwa v70, v119, v75 dst_sel:DWORD dst_unused:UNUSED_PAD src0_sel:WORD_0 src1_sel:DWORD
	v_pack_b32_f16 v65, v65, v66
	v_mul_f16_sdwa v66, v108, v57 dst_sel:DWORD dst_unused:UNUSED_PAD src0_sel:DWORD src1_sel:WORD_1
	v_fma_f16 v63, v87, v56, -v63
	v_pack_b32_f16 v61, v83, v68
	v_lshrrev_b32_e32 v120, 21, v70
	ds_write2_b32 v211, v64, v65 offset1:27
	v_mul_f16_sdwa v64, v87, v56 dst_sel:DWORD dst_unused:UNUSED_PAD src0_sel:DWORD src1_sel:WORD_1
	v_add_f16_e32 v68, v60, v63
	ds_write_b32 v211, v61 offset:216
	v_mul_lo_u16 v71, 0x51, v120
	v_fmac_f16_e32 v64, v62, v56
	v_lshrrev_b32_e32 v62, 16, v108
	v_sub_nc_u16 v121, v119, v71
	v_mul_f16_sdwa v65, v62, v57 dst_sel:DWORD dst_unused:UNUSED_PAD src0_sel:DWORD src1_sel:WORD_1
	v_fmac_f16_e32 v66, v62, v57
	v_lshlrev_b16 v73, 3, v121
	v_fma_f16 v65, v108, v57, -v65
	v_and_b32_e32 v73, 0xffff, v73
	v_add_f16_e32 v62, v63, v65
	v_fmac_f16_e32 v60, -0.5, v62
	v_sub_f16_e32 v62, v64, v66
	v_fmamk_f16 v69, v62, 0x3aee, v60
	v_fmac_f16_e32 v60, 0xbaee, v62
	v_add_f16_e32 v62, v64, v66
	v_add_f16_e32 v64, v67, v64
	v_fmac_f16_e32 v67, -0.5, v62
	v_sub_f16_e32 v62, v63, v65
	v_add_f16_e32 v64, v64, v66
	v_fmamk_f16 v63, v62, 0xbaee, v67
	v_fmac_f16_e32 v67, 0x3aee, v62
	v_add_f16_e32 v62, v68, v65
	v_mad_u16 v65, 0x51, v103, v107
	v_pack_b32_f16 v60, v60, v67
	v_pack_b32_f16 v61, v62, v64
	;; [unrolled: 1-line block ×3, first 2 shown]
	v_lshlrev_b32_sdwa v213, v76, v65 dst_sel:DWORD dst_unused:UNUSED_PAD src0_sel:DWORD src1_sel:WORD_0
	ds_write2_b32 v213, v61, v62 offset1:27
	ds_write_b32 v213, v60 offset:216
	v_mul_lo_u16 v60, 0x51, v59
	s_waitcnt lgkmcnt(0)
	s_barrier
	buffer_gl0_inv
	ds_read2_b32 v[67:68], v172 offset0:6 offset1:249
	v_sub_nc_u16 v58, v58, v60
	v_mov_b32_e32 v60, 0xf3
	ds_read2_b32 v[83:84], v131 offset1:243
	v_mul_u32_u24_sdwa v69, v217, v75 dst_sel:DWORD dst_unused:UNUSED_PAD src0_sel:WORD_0 src1_sel:DWORD
	v_and_b32_e32 v58, 0xff, v58
	v_mul_u32_u24_sdwa v59, v59, v60 dst_sel:DWORD dst_unused:UNUSED_PAD src0_sel:WORD_0 src1_sel:DWORD
	ds_read2_b32 v[60:61], v173 offset0:8 offset1:251
	v_lshrrev_b32_e32 v117, 21, v69
	v_add_lshl_u32 v212, v59, v58, 2
	v_lshlrev_b32_e32 v58, 3, v58
	v_mul_lo_u16 v69, 0x51, v117
	global_load_dwordx2 v[58:59], v58, s[18:19] offset:312
	v_sub_nc_u16 v118, v217, v69
	s_waitcnt lgkmcnt(2)
	v_lshrrev_b32_e32 v64, 16, v67
	s_waitcnt lgkmcnt(1)
	v_lshrrev_b32_e32 v105, 16, v83
	v_lshlrev_b16 v69, 3, v118
	s_waitcnt lgkmcnt(0)
	v_lshrrev_b32_e32 v62, 16, v61
	v_and_b32_e32 v69, 0xffff, v69
	s_waitcnt vmcnt(0)
	v_mul_f16_sdwa v63, v61, v58 dst_sel:DWORD dst_unused:UNUSED_PAD src0_sel:DWORD src1_sel:WORD_1
	v_mul_f16_sdwa v65, v67, v59 dst_sel:DWORD dst_unused:UNUSED_PAD src0_sel:DWORD src1_sel:WORD_1
	v_fmac_f16_e32 v63, v62, v58
	v_fmac_f16_e32 v65, v64, v59
	v_mul_f16_sdwa v62, v62, v58 dst_sel:DWORD dst_unused:UNUSED_PAD src0_sel:DWORD src1_sel:WORD_1
	v_mul_f16_sdwa v64, v64, v59 dst_sel:DWORD dst_unused:UNUSED_PAD src0_sel:DWORD src1_sel:WORD_1
	v_add_f16_e32 v66, v105, v63
	v_sub_f16_e32 v106, v63, v65
	v_fma_f16 v61, v61, v58, -v62
	v_fma_f16 v62, v67, v59, -v64
	v_add_f16_e32 v63, v63, v65
	v_add_f16_e32 v65, v66, v65
	;; [unrolled: 1-line block ×4, first 2 shown]
	v_sub_f16_e32 v107, v61, v62
	v_fmac_f16_e32 v105, -0.5, v63
	v_add_f16_e32 v64, v64, v62
	v_fma_f16 v109, -0.5, v66, v83
	v_mul_u32_u24_sdwa v66, v110, v75 dst_sel:DWORD dst_unused:UNUSED_PAD src0_sel:WORD_0 src1_sel:DWORD
	v_fmamk_f16 v62, v107, 0xbaee, v105
	v_fmac_f16_e32 v105, 0x3aee, v107
	v_pack_b32_f16 v108, v64, v65
	v_fmamk_f16 v61, v106, 0x3aee, v109
	v_lshrrev_b32_e32 v115, 21, v66
	v_fmac_f16_e32 v109, 0xbaee, v106
	v_pack_b32_f16 v111, v61, v62
	v_mul_u32_u24_sdwa v61, v72, v75 dst_sel:DWORD dst_unused:UNUSED_PAD src0_sel:WORD_0 src1_sel:DWORD
	v_mul_lo_u16 v66, 0x51, v115
	v_pack_b32_f16 v105, v109, v105
	v_lshrrev_b32_e32 v112, 21, v61
	v_sub_nc_u16 v116, v110, v66
	v_mul_lo_u16 v61, 0x51, v112
	v_lshlrev_b16 v66, 3, v116
	v_sub_nc_u16 v113, v72, v61
	v_and_b32_e32 v66, 0xffff, v66
	v_lshlrev_b32_e32 v72, 3, v72
	v_lshlrev_b16 v61, 3, v113
	v_and_b32_e32 v61, 0xffff, v61
	v_add_co_u32 v61, s0, s18, v61
	v_add_co_ci_u32_e64 v62, null, s19, 0, s0
	global_load_dwordx2 v[62:63], v[61:62], off offset:312
	v_mul_u32_u24_sdwa v61, v77, v75 dst_sel:DWORD dst_unused:UNUSED_PAD src0_sel:WORD_0 src1_sel:DWORD
	v_lshrrev_b32_e32 v61, 21, v61
	v_mul_lo_u16 v64, 0x51, v61
	v_sub_nc_u16 v114, v77, v64
	v_lshlrev_b16 v64, 3, v114
	v_mad_u16 v61, 0xf3, v61, v114
	v_and_b32_e32 v64, 0xffff, v64
	v_lshlrev_b32_sdwa v220, v76, v61 dst_sel:DWORD dst_unused:UNUSED_PAD src0_sel:DWORD src1_sel:WORD_0
	v_add_co_u32 v64, s0, s18, v64
	v_add_co_ci_u32_e64 v65, null, s19, 0, s0
	v_add_co_u32 v66, s0, s18, v66
	v_add_co_ci_u32_e64 v67, null, s19, 0, s0
	global_load_dwordx2 v[64:65], v[64:65], off offset:312
	v_add_co_u32 v69, s0, s18, v69
	global_load_dwordx2 v[66:67], v[66:67], off offset:312
	v_add_co_ci_u32_e64 v70, null, s19, 0, s0
	v_add_co_u32 v73, s0, s18, v73
	global_load_dwordx2 v[70:71], v[69:70], off offset:312
	v_mul_u32_u24_sdwa v69, v216, v75 dst_sel:DWORD dst_unused:UNUSED_PAD src0_sel:WORD_0 src1_sel:DWORD
	v_mul_u32_u24_sdwa v75, v214, v75 dst_sel:DWORD dst_unused:UNUSED_PAD src0_sel:WORD_0 src1_sel:DWORD
	v_lshrrev_b32_e32 v69, 21, v69
	v_lshrrev_b32_e32 v124, 21, v75
	v_mul_lo_u16 v75, 0x51, v123
	v_mul_lo_u16 v74, 0x51, v69
	v_sub_nc_u16 v125, v215, v75
	v_mul_lo_u16 v75, 0x51, v124
	v_sub_nc_u16 v122, v216, v74
	v_add_co_ci_u32_e64 v74, null, s19, 0, s0
	v_sub_nc_u16 v126, v214, v75
	v_lshlrev_b16 v75, 3, v125
	v_lshlrev_b16 v78, 3, v122
	;; [unrolled: 1-line block ×3, first 2 shown]
	v_and_b32_e32 v75, 0xffff, v75
	v_and_b32_e32 v78, 0xffff, v78
	;; [unrolled: 1-line block ×3, first 2 shown]
	v_add_co_u32 v78, s0, s18, v78
	v_add_co_ci_u32_e64 v79, null, s19, 0, s0
	v_add_co_u32 v80, s0, s18, v75
	v_add_co_ci_u32_e64 v81, null, s19, 0, s0
	v_add_co_u32 v82, s0, s18, v82
	v_add_co_ci_u32_e64 v83, null, s19, 0, s0
	s_clause 0x3
	global_load_dwordx2 v[74:75], v[73:74], off offset:312
	global_load_dwordx2 v[78:79], v[78:79], off offset:312
	;; [unrolled: 1-line block ×4, first 2 shown]
	ds_read_b32 v73, v131 offset:25272
	ds_read2_b32 v[85:86], v166 offset0:6 offset1:249
	ds_read2_b32 v[87:88], v160 offset0:6 offset1:249
	;; [unrolled: 1-line block ×9, first 2 shown]
	ds_read2_b32 v[103:104], v140 offset1:243
	s_waitcnt vmcnt(0) lgkmcnt(0)
	s_barrier
	buffer_gl0_inv
	ds_write2_b32 v212, v108, v111 offset1:81
	v_lshrrev_b32_e32 v108, 16, v68
	ds_write_b32 v212, v105 offset:648
	v_mad_u16 v105, 0xf3, v112, v113
	v_lshrrev_b32_e32 v106, 16, v85
	v_lshlrev_b32_sdwa v218, v76, v105 dst_sel:DWORD dst_unused:UNUSED_PAD src0_sel:DWORD src1_sel:WORD_0
	v_lshrrev_b32_e32 v61, 16, v90
	v_mul_f16_sdwa v107, v85, v62 dst_sel:DWORD dst_unused:UNUSED_PAD src0_sel:DWORD src1_sel:WORD_1
	v_mul_f16_sdwa v111, v108, v63 dst_sel:DWORD dst_unused:UNUSED_PAD src0_sel:DWORD src1_sel:WORD_1
	v_fmac_f16_e32 v107, v106, v62
	v_mul_f16_sdwa v106, v106, v62 dst_sel:DWORD dst_unused:UNUSED_PAD src0_sel:DWORD src1_sel:WORD_1
	v_fma_f16 v111, v68, v63, -v111
	v_mul_f16_sdwa v68, v68, v63 dst_sel:DWORD dst_unused:UNUSED_PAD src0_sel:DWORD src1_sel:WORD_1
	v_fma_f16 v85, v85, v62, -v106
	v_fmac_f16_e32 v68, v108, v63
	v_lshrrev_b32_e32 v108, 16, v84
	v_add_f16_e32 v106, v85, v111
	v_add_f16_e32 v127, v84, v85
	;; [unrolled: 1-line block ×3, first 2 shown]
	v_sub_f16_e32 v85, v85, v111
	v_fmac_f16_e32 v84, -0.5, v106
	v_add_f16_e32 v106, v108, v107
	v_sub_f16_e32 v107, v107, v68
	v_fmac_f16_e32 v108, -0.5, v128
	v_add_f16_e32 v68, v106, v68
	v_add_f16_e32 v106, v127, v111
	v_fmamk_f16 v109, v85, 0xbaee, v108
	v_fmac_f16_e32 v108, 0x3aee, v85
	v_pack_b32_f16 v68, v106, v68
	v_fmamk_f16 v106, v107, 0x3aee, v84
	v_fmac_f16_e32 v84, 0xbaee, v107
	v_pack_b32_f16 v106, v106, v109
	v_mul_f16_sdwa v105, v89, v65 dst_sel:DWORD dst_unused:UNUSED_PAD src0_sel:DWORD src1_sel:WORD_1
	ds_write2_b32 v218, v68, v106 offset1:81
	v_pack_b32_f16 v68, v84, v108
	v_lshrrev_b32_e32 v84, 16, v86
	v_lshrrev_b32_e32 v106, 16, v87
	ds_write_b32 v218, v68 offset:648
	v_mul_f16_sdwa v85, v84, v64 dst_sel:DWORD dst_unused:UNUSED_PAD src0_sel:DWORD src1_sel:WORD_1
	v_fma_f16 v85, v86, v64, -v85
	v_mul_f16_sdwa v86, v86, v64 dst_sel:DWORD dst_unused:UNUSED_PAD src0_sel:DWORD src1_sel:WORD_1
	v_fmac_f16_e32 v86, v84, v64
	v_lshrrev_b32_e32 v84, 16, v89
	v_add_f16_e32 v107, v106, v86
	v_fmac_f16_e32 v105, v84, v65
	v_mul_f16_sdwa v84, v84, v65 dst_sel:DWORD dst_unused:UNUSED_PAD src0_sel:DWORD src1_sel:WORD_1
	v_add_f16_e32 v108, v86, v105
	v_fma_f16 v84, v89, v65, -v84
	v_sub_f16_e32 v86, v86, v105
	v_add_f16_e32 v105, v107, v105
	v_add_f16_e32 v89, v87, v85
	v_fmac_f16_e32 v106, -0.5, v108
	v_add_f16_e32 v107, v85, v84
	v_add_f16_e32 v89, v89, v84
	v_sub_f16_e32 v84, v85, v84
	v_fma_f16 v85, -0.5, v107, v87
	v_pack_b32_f16 v68, v89, v105
	v_fmamk_f16 v89, v84, 0xbaee, v106
	v_fmamk_f16 v87, v86, 0x3aee, v85
	v_fmac_f16_e32 v106, 0x3aee, v84
	v_mul_f16_sdwa v84, v91, v66 dst_sel:DWORD dst_unused:UNUSED_PAD src0_sel:DWORD src1_sel:WORD_1
	v_fmac_f16_e32 v85, 0xbaee, v86
	v_pack_b32_f16 v87, v87, v89
	v_lshrrev_b32_e32 v89, 16, v88
	v_pack_b32_f16 v85, v85, v106
	ds_write2_b32 v220, v68, v87 offset1:81
	v_mul_f16_sdwa v87, v90, v67 dst_sel:DWORD dst_unused:UNUSED_PAD src0_sel:DWORD src1_sel:WORD_1
	v_mul_f16_sdwa v68, v61, v67 dst_sel:DWORD dst_unused:UNUSED_PAD src0_sel:DWORD src1_sel:WORD_1
	ds_write_b32 v220, v85 offset:648
	v_fmac_f16_e32 v87, v61, v67
	v_lshrrev_b32_e32 v61, 16, v91
	v_fma_f16 v68, v90, v67, -v68
	v_fmac_f16_e32 v84, v61, v66
	v_mul_f16_sdwa v61, v61, v66 dst_sel:DWORD dst_unused:UNUSED_PAD src0_sel:DWORD src1_sel:WORD_1
	v_fma_f16 v61, v91, v66, -v61
	v_add_f16_e32 v91, v84, v87
	v_add_f16_e32 v86, v61, v68
	;; [unrolled: 1-line block ×3, first 2 shown]
	v_sub_f16_e32 v61, v61, v68
	v_fmac_f16_e32 v88, -0.5, v86
	v_add_f16_e32 v86, v89, v84
	v_sub_f16_e32 v84, v84, v87
	v_fmac_f16_e32 v89, -0.5, v91
	v_add_f16_e32 v86, v86, v87
	v_add_f16_e32 v87, v90, v68
	v_mad_u16 v68, 0xf3, v115, v116
	v_pack_b32_f16 v85, v87, v86
	v_fmamk_f16 v86, v84, 0x3aee, v88
	v_fmamk_f16 v87, v61, 0xbaee, v89
	v_lshlrev_b32_sdwa v221, v76, v68 dst_sel:DWORD dst_unused:UNUSED_PAD src0_sel:DWORD src1_sel:WORD_0
	v_lshrrev_b32_e32 v68, 16, v92
	v_fmac_f16_e32 v88, 0xbaee, v84
	v_fmac_f16_e32 v89, 0x3aee, v61
	v_pack_b32_f16 v86, v86, v87
	v_lshrrev_b32_e32 v87, 16, v93
	v_mul_f16_sdwa v84, v68, v70 dst_sel:DWORD dst_unused:UNUSED_PAD src0_sel:DWORD src1_sel:WORD_1
	v_pack_b32_f16 v61, v88, v89
	ds_write2_b32 v221, v85, v86 offset1:81
	v_mul_f16_sdwa v85, v92, v70 dst_sel:DWORD dst_unused:UNUSED_PAD src0_sel:DWORD src1_sel:WORD_1
	v_mul_f16_sdwa v86, v95, v71 dst_sel:DWORD dst_unused:UNUSED_PAD src0_sel:DWORD src1_sel:WORD_1
	v_fma_f16 v84, v92, v70, -v84
	ds_write_b32 v221, v61 offset:648
	v_mad_u16 v61, 0xf3, v117, v118
	v_fmac_f16_e32 v85, v68, v70
	v_lshrrev_b32_e32 v68, 16, v95
	v_lshlrev_b32_sdwa v222, v76, v61 dst_sel:DWORD dst_unused:UNUSED_PAD src0_sel:DWORD src1_sel:WORD_0
	v_add_f16_e32 v88, v87, v85
	v_fmac_f16_e32 v86, v68, v71
	v_mul_f16_sdwa v68, v68, v71 dst_sel:DWORD dst_unused:UNUSED_PAD src0_sel:DWORD src1_sel:WORD_1
	v_lshrrev_b32_e32 v61, 16, v96
	v_add_f16_e32 v89, v85, v86
	v_sub_f16_e32 v85, v85, v86
	v_add_f16_e32 v86, v88, v86
	v_fma_f16 v68, v95, v71, -v68
	v_add_f16_e32 v88, v93, v84
	v_fmac_f16_e32 v87, -0.5, v89
	v_add_f16_e32 v89, v84, v68
	v_add_f16_e32 v88, v88, v68
	v_sub_f16_e32 v68, v84, v68
	v_pack_b32_f16 v84, v88, v86
	v_fma_f16 v86, -0.5, v89, v93
	v_fmamk_f16 v89, v68, 0xbaee, v87
	v_fmac_f16_e32 v87, 0x3aee, v68
	v_mul_f16_sdwa v68, v97, v74 dst_sel:DWORD dst_unused:UNUSED_PAD src0_sel:DWORD src1_sel:WORD_1
	v_fmamk_f16 v88, v85, 0x3aee, v86
	v_fmac_f16_e32 v86, 0xbaee, v85
	v_pack_b32_f16 v88, v88, v89
	v_lshrrev_b32_e32 v89, 16, v94
	v_pack_b32_f16 v86, v86, v87
	ds_write2_b32 v222, v84, v88 offset1:81
	v_mul_f16_sdwa v88, v96, v75 dst_sel:DWORD dst_unused:UNUSED_PAD src0_sel:DWORD src1_sel:WORD_1
	v_mul_f16_sdwa v84, v61, v75 dst_sel:DWORD dst_unused:UNUSED_PAD src0_sel:DWORD src1_sel:WORD_1
	ds_write_b32 v222, v86 offset:648
	v_fmac_f16_e32 v88, v61, v75
	v_lshrrev_b32_e32 v61, 16, v97
	v_fma_f16 v84, v96, v75, -v84
	v_fmac_f16_e32 v68, v61, v74
	v_mul_f16_sdwa v61, v61, v74 dst_sel:DWORD dst_unused:UNUSED_PAD src0_sel:DWORD src1_sel:WORD_1
	v_add_f16_e32 v91, v68, v88
	v_fma_f16 v61, v97, v74, -v61
	v_add_f16_e32 v85, v61, v84
	v_add_f16_e32 v90, v94, v61
	v_sub_f16_e32 v61, v61, v84
	v_fmac_f16_e32 v94, -0.5, v85
	v_add_f16_e32 v85, v89, v68
	v_sub_f16_e32 v68, v68, v88
	v_fmac_f16_e32 v89, -0.5, v91
	v_add_f16_e32 v87, v90, v84
	v_mad_u16 v84, 0xf3, v120, v121
	v_add_f16_e32 v85, v85, v88
	v_fmamk_f16 v86, v68, 0x3aee, v94
	v_fmac_f16_e32 v94, 0xbaee, v68
	v_lshrrev_b32_e32 v68, 16, v98
	v_lshlrev_b32_sdwa v224, v76, v84 dst_sel:DWORD dst_unused:UNUSED_PAD src0_sel:DWORD src1_sel:WORD_0
	v_pack_b32_f16 v85, v87, v85
	v_fmamk_f16 v87, v61, 0xbaee, v89
	v_fmac_f16_e32 v89, 0x3aee, v61
	v_mul_f16_sdwa v84, v68, v78 dst_sel:DWORD dst_unused:UNUSED_PAD src0_sel:DWORD src1_sel:WORD_1
	v_pack_b32_f16 v86, v86, v87
	v_lshrrev_b32_e32 v87, 16, v99
	v_pack_b32_f16 v61, v94, v89
	v_fma_f16 v84, v98, v78, -v84
	ds_write2_b32 v224, v85, v86 offset1:81
	v_mul_f16_sdwa v85, v98, v78 dst_sel:DWORD dst_unused:UNUSED_PAD src0_sel:DWORD src1_sel:WORD_1
	v_mul_f16_sdwa v86, v101, v79 dst_sel:DWORD dst_unused:UNUSED_PAD src0_sel:DWORD src1_sel:WORD_1
	ds_write_b32 v224, v61 offset:648
	v_mad_u16 v61, 0xf3, v69, v122
	v_fmac_f16_e32 v85, v68, v78
	v_lshrrev_b32_e32 v68, 16, v101
	v_lshlrev_b32_sdwa v219, v76, v61 dst_sel:DWORD dst_unused:UNUSED_PAD src0_sel:DWORD src1_sel:WORD_0
	v_lshrrev_b32_e32 v61, 16, v102
	v_add_f16_e32 v88, v87, v85
	v_fmac_f16_e32 v86, v68, v79
	v_mul_f16_sdwa v68, v68, v79 dst_sel:DWORD dst_unused:UNUSED_PAD src0_sel:DWORD src1_sel:WORD_1
	v_add_f16_e32 v89, v85, v86
	v_fma_f16 v68, v101, v79, -v68
	v_sub_f16_e32 v85, v85, v86
	v_add_f16_e32 v86, v88, v86
	v_add_f16_e32 v88, v99, v84
	v_fmac_f16_e32 v87, -0.5, v89
	v_add_f16_e32 v89, v84, v68
	v_add_f16_e32 v88, v88, v68
	v_sub_f16_e32 v68, v84, v68
	v_fma_f16 v84, -0.5, v89, v99
	v_pack_b32_f16 v69, v88, v86
	v_fmamk_f16 v88, v68, 0xbaee, v87
	v_fmamk_f16 v86, v85, 0x3aee, v84
	v_fmac_f16_e32 v87, 0x3aee, v68
	v_mul_f16_sdwa v68, v103, v80 dst_sel:DWORD dst_unused:UNUSED_PAD src0_sel:DWORD src1_sel:WORD_1
	v_fmac_f16_e32 v84, 0xbaee, v85
	v_pack_b32_f16 v86, v86, v88
	v_lshrrev_b32_e32 v88, 16, v100
	v_pack_b32_f16 v84, v84, v87
	ds_write2_b32 v219, v69, v86 offset1:81
	v_mul_f16_sdwa v86, v102, v81 dst_sel:DWORD dst_unused:UNUSED_PAD src0_sel:DWORD src1_sel:WORD_1
	v_mul_f16_sdwa v69, v61, v81 dst_sel:DWORD dst_unused:UNUSED_PAD src0_sel:DWORD src1_sel:WORD_1
	ds_write_b32 v219, v84 offset:648
	v_fmac_f16_e32 v86, v61, v81
	v_lshrrev_b32_e32 v61, 16, v103
	v_fma_f16 v69, v102, v81, -v69
	v_fmac_f16_e32 v68, v61, v80
	v_mul_f16_sdwa v61, v61, v80 dst_sel:DWORD dst_unused:UNUSED_PAD src0_sel:DWORD src1_sel:WORD_1
	v_add_f16_e32 v90, v68, v86
	v_fma_f16 v61, v103, v80, -v61
	v_add_f16_e32 v85, v61, v69
	v_add_f16_e32 v89, v100, v61
	v_sub_f16_e32 v61, v61, v69
	v_fmac_f16_e32 v100, -0.5, v85
	v_add_f16_e32 v85, v88, v68
	v_sub_f16_e32 v68, v68, v86
	v_fmac_f16_e32 v88, -0.5, v90
	v_add_f16_e32 v85, v85, v86
	v_add_f16_e32 v86, v89, v69
	v_mad_u16 v69, 0xf3, v123, v125
	v_pack_b32_f16 v84, v86, v85
	v_fmamk_f16 v85, v68, 0x3aee, v100
	v_fmamk_f16 v86, v61, 0xbaee, v88
	v_lshlrev_b32_sdwa v223, v76, v69 dst_sel:DWORD dst_unused:UNUSED_PAD src0_sel:DWORD src1_sel:WORD_0
	v_fmac_f16_e32 v100, 0xbaee, v68
	v_lshrrev_b32_e32 v68, 16, v104
	v_fmac_f16_e32 v88, 0x3aee, v61
	v_pack_b32_f16 v85, v85, v86
	v_lshrrev_b32_e32 v86, 16, v60
	v_mul_f16_sdwa v69, v68, v82 dst_sel:DWORD dst_unused:UNUSED_PAD src0_sel:DWORD src1_sel:WORD_1
	v_pack_b32_f16 v61, v100, v88
	ds_write2_b32 v223, v84, v85 offset1:81
	v_mul_f16_sdwa v84, v104, v82 dst_sel:DWORD dst_unused:UNUSED_PAD src0_sel:DWORD src1_sel:WORD_1
	v_fma_f16 v69, v104, v82, -v69
	ds_write_b32 v223, v61 offset:648
	v_fmac_f16_e32 v84, v68, v82
	v_lshrrev_b32_e32 v68, 16, v73
	v_add_f16_e32 v87, v60, v69
	v_mul_f16_sdwa v85, v68, v83 dst_sel:DWORD dst_unused:UNUSED_PAD src0_sel:DWORD src1_sel:WORD_1
	v_fma_f16 v85, v73, v83, -v85
	v_mul_f16_sdwa v73, v73, v83 dst_sel:DWORD dst_unused:UNUSED_PAD src0_sel:DWORD src1_sel:WORD_1
	v_fmac_f16_e32 v73, v68, v83
	v_add_f16_e32 v68, v69, v85
	v_fmac_f16_e32 v60, -0.5, v68
	v_sub_f16_e32 v68, v84, v73
	v_fmamk_f16 v88, v68, 0x3aee, v60
	v_fmac_f16_e32 v60, 0xbaee, v68
	v_add_f16_e32 v68, v84, v73
	v_add_f16_e32 v84, v86, v84
	v_fmac_f16_e32 v86, -0.5, v68
	v_sub_f16_e32 v68, v69, v85
	v_add_f16_e32 v73, v84, v73
	v_mad_u16 v84, 0xf3, v124, v126
	v_fmamk_f16 v69, v68, 0xbaee, v86
	v_fmac_f16_e32 v86, 0x3aee, v68
	v_add_f16_e32 v68, v87, v85
	v_lshlrev_b32_sdwa v225, v76, v84 dst_sel:DWORD dst_unused:UNUSED_PAD src0_sel:DWORD src1_sel:WORD_0
	v_pack_b32_f16 v60, v60, v86
	v_pack_b32_f16 v61, v68, v73
	;; [unrolled: 1-line block ×3, first 2 shown]
	ds_write2_b32 v225, v61, v68 offset1:81
	ds_write_b32 v225, v60 offset:648
	v_mov_b32_e32 v60, 0xdb3
	v_lshlrev_b32_e32 v73, 3, v0
	s_waitcnt lgkmcnt(0)
	s_barrier
	buffer_gl0_inv
	v_mul_u32_u24_sdwa v61, v77, v60 dst_sel:DWORD dst_unused:UNUSED_PAD src0_sel:WORD_0 src1_sel:DWORD
	ds_read2_b32 v[84:85], v172 offset0:6 offset1:249
	ds_read2_b32 v[99:100], v131 offset1:243
	v_lshrrev_b32_e32 v61, 16, v61
	v_sub_nc_u16 v68, v77, v61
	v_lshrrev_b16 v68, 1, v68
	v_add_nc_u16 v86, v68, v61
	v_mul_u32_u24_sdwa v61, v110, v60 dst_sel:DWORD dst_unused:UNUSED_PAD src0_sel:WORD_0 src1_sel:DWORD
	s_waitcnt lgkmcnt(1)
	v_lshrrev_b32_e32 v95, 16, v84
	s_waitcnt lgkmcnt(0)
	v_lshrrev_b32_e32 v109, 16, v99
	v_lshrrev_b16 v86, 7, v86
	v_lshrrev_b32_e32 v61, 16, v61
	v_mul_lo_u16 v86, 0xf3, v86
	v_sub_nc_u16 v68, v110, v61
	v_sub_nc_u16 v127, v77, v86
	v_lshrrev_b16 v68, 1, v68
	v_lshlrev_b32_e32 v77, 3, v77
	v_lshlrev_b16 v86, 3, v127
	v_add_nc_u16 v88, v68, v61
	v_mul_u32_u24_sdwa v61, v217, v60 dst_sel:DWORD dst_unused:UNUSED_PAD src0_sel:WORD_0 src1_sel:DWORD
	v_lshlrev_b32_sdwa v226, v76, v127 dst_sel:DWORD dst_unused:UNUSED_PAD src0_sel:DWORD src1_sel:WORD_0
	v_and_b32_e32 v86, 0xffff, v86
	v_lshrrev_b16 v88, 7, v88
	v_lshrrev_b32_e32 v61, 16, v61
	v_add_nc_u32_e32 v238, 0x16c0, v226
	v_add_co_u32 v86, s0, s18, v86
	v_sub_nc_u16 v68, v217, v61
	v_mul_lo_u16 v88, 0xf3, v88
	v_lshrrev_b16 v68, 1, v68
	v_sub_nc_u16 v128, v110, v88
	v_lshlrev_b32_e32 v110, 3, v110
	v_add_nc_u16 v90, v68, v61
	v_mul_u32_u24_sdwa v61, v119, v60 dst_sel:DWORD dst_unused:UNUSED_PAD src0_sel:WORD_0 src1_sel:DWORD
	v_lshlrev_b16 v88, 3, v128
	v_lshlrev_b32_sdwa v227, v76, v128 dst_sel:DWORD dst_unused:UNUSED_PAD src0_sel:DWORD src1_sel:WORD_0
	v_lshrrev_b16 v90, 7, v90
	v_lshrrev_b32_e32 v61, 16, v61
	v_and_b32_e32 v88, 0xffff, v88
	v_add_nc_u32_e32 v239, 0x2200, v227
	v_mul_lo_u16 v90, 0xf3, v90
	v_sub_nc_u16 v68, v119, v61
	v_sub_nc_u16 v129, v217, v90
	v_lshrrev_b16 v68, 1, v68
	v_lshlrev_b32_sdwa v228, v76, v129 dst_sel:DWORD dst_unused:UNUSED_PAD src0_sel:DWORD src1_sel:WORD_0
	v_add_nc_u16 v91, v68, v61
	v_mul_u32_u24_sdwa v61, v216, v60 dst_sel:DWORD dst_unused:UNUSED_PAD src0_sel:WORD_0 src1_sel:DWORD
	v_add_nc_u32_e32 v232, 0x2d80, v228
	v_lshrrev_b16 v90, 7, v91
	v_lshrrev_b32_e32 v61, 16, v61
	v_lshlrev_b16 v91, 3, v129
	v_sub_nc_u16 v68, v216, v61
	v_and_b32_e32 v91, 0xffff, v91
	v_lshrrev_b16 v68, 1, v68
	v_add_nc_u16 v92, v68, v61
	v_mul_u32_u24_sdwa v61, v215, v60 dst_sel:DWORD dst_unused:UNUSED_PAD src0_sel:WORD_0 src1_sel:DWORD
	v_mul_u32_u24_sdwa v60, v214, v60 dst_sel:DWORD dst_unused:UNUSED_PAD src0_sel:WORD_0 src1_sel:DWORD
	v_lshrrev_b16 v92, 7, v92
	v_lshrrev_b32_e32 v61, 16, v61
	v_lshrrev_b32_e32 v60, 16, v60
	v_mul_lo_u16 v92, 0xf3, v92
	v_sub_nc_u16 v68, v215, v61
	v_sub_nc_u16 v230, v216, v92
	v_lshrrev_b16 v68, 1, v68
	v_add_nc_u16 v93, v68, v61
	v_sub_nc_u16 v61, v214, v60
	ds_read2_b32 v[68:69], v173 offset0:8 offset1:251
	v_lshrrev_b16 v93, 7, v93
	v_lshrrev_b16 v61, 1, v61
	v_add_nc_u16 v94, v61, v60
	global_load_dwordx2 v[60:61], v73, s[18:19] offset:960
	v_lshrrev_b16 v94, 7, v94
	s_waitcnt lgkmcnt(0)
	v_lshrrev_b32_e32 v87, 16, v69
	s_waitcnt vmcnt(0)
	v_mul_f16_sdwa v89, v69, v60 dst_sel:DWORD dst_unused:UNUSED_PAD src0_sel:DWORD src1_sel:WORD_1
	v_mul_f16_sdwa v96, v84, v61 dst_sel:DWORD dst_unused:UNUSED_PAD src0_sel:DWORD src1_sel:WORD_1
	v_fmac_f16_e32 v89, v87, v60
	v_fmac_f16_e32 v96, v95, v61
	v_mul_f16_sdwa v87, v87, v60 dst_sel:DWORD dst_unused:UNUSED_PAD src0_sel:DWORD src1_sel:WORD_1
	v_mul_f16_sdwa v95, v95, v61 dst_sel:DWORD dst_unused:UNUSED_PAD src0_sel:DWORD src1_sel:WORD_1
	v_add_f16_e32 v97, v109, v89
	v_add_f16_e32 v98, v89, v96
	v_fma_f16 v69, v69, v60, -v87
	v_fma_f16 v84, v84, v61, -v95
	v_sub_f16_e32 v124, v89, v96
	v_add_f16_e32 v89, v97, v96
	v_fmac_f16_e32 v109, -0.5, v98
	v_add_f16_e32 v87, v99, v69
	v_add_f16_e32 v95, v69, v84
	v_sub_f16_e32 v69, v69, v84
	v_mul_lo_u16 v96, 0xf3, v93
	v_add_f16_e32 v87, v87, v84
	v_fma_f16 v125, -0.5, v95, v99
	v_mul_lo_u16 v95, 0xf3, v90
	v_sub_nc_u16 v231, v215, v96
	v_mul_lo_u16 v96, 0xf3, v94
	v_pack_b32_f16 v84, v87, v89
	v_fmamk_f16 v87, v124, 0x3aee, v125
	v_fmamk_f16 v89, v69, 0xbaee, v109
	v_sub_nc_u16 v130, v119, v95
	v_sub_nc_u16 v234, v214, v96
	v_lshlrev_b16 v95, 3, v230
	v_lshlrev_b16 v96, 3, v231
	v_pack_b32_f16 v126, v87, v89
	v_add_co_ci_u32_e64 v87, null, s19, 0, s0
	v_add_co_u32 v88, s0, s18, v88
	v_add_co_ci_u32_e64 v89, null, s19, 0, s0
	global_load_dwordx2 v[86:87], v[86:87], off offset:960
	v_add_co_u32 v90, s0, s18, v91
	global_load_dwordx2 v[88:89], v[88:89], off offset:960
	v_add_co_ci_u32_e64 v91, null, s19, 0, s0
	v_lshlrev_b16 v92, 3, v130
	v_lshlrev_b16 v97, 3, v234
	v_and_b32_e32 v95, 0xffff, v95
	global_load_dwordx2 v[90:91], v[90:91], off offset:960
	v_and_b32_e32 v96, 0xffff, v96
	v_and_b32_e32 v92, 0xffff, v92
	;; [unrolled: 1-line block ×3, first 2 shown]
	v_fmac_f16_e32 v125, 0xbaee, v124
	v_fmac_f16_e32 v109, 0x3aee, v69
	v_lshrrev_b32_e32 v124, 16, v100
	v_add_co_u32 v92, s0, s18, v92
	v_add_co_ci_u32_e64 v93, null, s19, 0, s0
	v_add_co_u32 v94, s0, s18, v95
	v_add_co_ci_u32_e64 v95, null, s19, 0, s0
	;; [unrolled: 2-line block ×4, first 2 shown]
	s_clause 0x3
	global_load_dwordx2 v[92:93], v[92:93], off offset:960
	global_load_dwordx2 v[94:95], v[94:95], off offset:960
	;; [unrolled: 1-line block ×4, first 2 shown]
	ds_read_b32 v237, v131 offset:25272
	ds_read2_b32 v[101:102], v166 offset0:6 offset1:249
	ds_read2_b32 v[103:104], v160 offset0:6 offset1:249
	;; [unrolled: 1-line block ×9, first 2 shown]
	ds_read2_b32 v[122:123], v140 offset1:243
	s_waitcnt vmcnt(0) lgkmcnt(0)
	s_barrier
	buffer_gl0_inv
	ds_write2_b32 v131, v84, v126 offset1:243
	v_lshrrev_b32_e32 v84, 16, v85
	v_pack_b32_f16 v69, v125, v109
	v_lshlrev_b32_sdwa v229, v76, v130 dst_sel:DWORD dst_unused:UNUSED_PAD src0_sel:DWORD src1_sel:WORD_0
	v_lshlrev_b32_sdwa v230, v76, v230 dst_sel:DWORD dst_unused:UNUSED_PAD src0_sel:DWORD src1_sel:WORD_0
	;; [unrolled: 1-line block ×3, first 2 shown]
	v_mul_f16_sdwa v126, v84, v61 dst_sel:DWORD dst_unused:UNUSED_PAD src0_sel:DWORD src1_sel:WORD_1
	v_mul_f16_sdwa v109, v101, v60 dst_sel:DWORD dst_unused:UNUSED_PAD src0_sel:DWORD src1_sel:WORD_1
	v_add_nc_u32_e32 v233, 0x38e0, v229
	v_add_nc_u32_e32 v235, 0x4440, v230
	;; [unrolled: 1-line block ×3, first 2 shown]
	v_fma_f16 v126, v85, v61, -v126
	v_mul_f16_sdwa v85, v85, v61 dst_sel:DWORD dst_unused:UNUSED_PAD src0_sel:DWORD src1_sel:WORD_1
	v_lshlrev_b32_sdwa v234, v76, v234 dst_sel:DWORD dst_unused:UNUSED_PAD src0_sel:DWORD src1_sel:WORD_0
	v_fmac_f16_e32 v85, v84, v61
	v_lshrrev_b32_e32 v84, 16, v101
	v_fmac_f16_e32 v109, v84, v60
	v_mul_f16_sdwa v84, v84, v60 dst_sel:DWORD dst_unused:UNUSED_PAD src0_sel:DWORD src1_sel:WORD_1
	v_add_f16_e32 v125, v124, v109
	v_fma_f16 v84, v101, v60, -v84
	v_add_f16_e32 v125, v125, v85
	v_add_f16_e32 v101, v100, v84
	;; [unrolled: 1-line block ×3, first 2 shown]
	v_pack_b32_f16 v101, v101, v125
	ds_write2_b32 v160, v69, v101 offset0:6 offset1:249
	v_add_f16_e32 v69, v84, v126
	v_lshrrev_b32_e32 v101, 16, v103
	v_fmac_f16_e32 v100, -0.5, v69
	v_add_f16_e32 v69, v109, v85
	v_sub_f16_e32 v85, v109, v85
	v_fmac_f16_e32 v124, -0.5, v69
	v_sub_f16_e32 v69, v84, v126
	v_fmamk_f16 v84, v85, 0x3aee, v100
	v_fmac_f16_e32 v100, 0xbaee, v85
	v_fmamk_f16 v85, v69, 0xbaee, v124
	v_fmac_f16_e32 v124, 0x3aee, v69
	v_pack_b32_f16 v84, v84, v85
	v_pack_b32_f16 v69, v100, v124
	ds_write2_b32 v154, v84, v69 offset0:12 offset1:255
	v_lshrrev_b32_e32 v69, 16, v102
	v_mul_f16_sdwa v85, v102, v86 dst_sel:DWORD dst_unused:UNUSED_PAD src0_sel:DWORD src1_sel:WORD_1
	v_mul_f16_sdwa v84, v69, v86 dst_sel:DWORD dst_unused:UNUSED_PAD src0_sel:DWORD src1_sel:WORD_1
	;; [unrolled: 1-line block ×3, first 2 shown]
	v_fmac_f16_e32 v85, v69, v86
	v_lshrrev_b32_e32 v69, 16, v105
	v_fma_f16 v84, v102, v86, -v84
	v_add_f16_e32 v102, v101, v85
	v_fmac_f16_e32 v100, v69, v87
	v_mul_f16_sdwa v69, v69, v87 dst_sel:DWORD dst_unused:UNUSED_PAD src0_sel:DWORD src1_sel:WORD_1
	v_add_f16_e32 v109, v85, v100
	v_sub_f16_e32 v85, v85, v100
	v_add_f16_e32 v100, v102, v100
	v_fma_f16 v69, v105, v87, -v69
	v_add_f16_e32 v102, v103, v84
	v_fmac_f16_e32 v101, -0.5, v109
	v_add_f16_e32 v105, v84, v69
	v_add_f16_e32 v102, v102, v69
	v_sub_f16_e32 v69, v84, v69
	v_pack_b32_f16 v84, v102, v100
	v_fma_f16 v100, -0.5, v105, v103
	v_fmamk_f16 v103, v69, 0xbaee, v101
	v_mul_f16_sdwa v105, v107, v88 dst_sel:DWORD dst_unused:UNUSED_PAD src0_sel:DWORD src1_sel:WORD_1
	v_fmac_f16_e32 v101, 0x3aee, v69
	v_fmamk_f16 v102, v85, 0x3aee, v100
	v_fmac_f16_e32 v100, 0xbaee, v85
	v_pack_b32_f16 v102, v102, v103
	v_mul_f16_sdwa v103, v106, v89 dst_sel:DWORD dst_unused:UNUSED_PAD src0_sel:DWORD src1_sel:WORD_1
	v_pack_b32_f16 v69, v100, v101
	v_mov_b32_e32 v100, 0x6799
	ds_write2_b32 v238, v84, v102 offset0:2 offset1:245
	v_lshrrev_b32_e32 v84, 16, v106
	v_mul_f16_sdwa v102, v84, v89 dst_sel:DWORD dst_unused:UNUSED_PAD src0_sel:DWORD src1_sel:WORD_1
	v_fmac_f16_e32 v103, v84, v89
	v_lshrrev_b32_e32 v84, 16, v107
	v_fma_f16 v102, v106, v89, -v102
	v_fmac_f16_e32 v105, v84, v88
	v_mul_f16_sdwa v84, v84, v88 dst_sel:DWORD dst_unused:UNUSED_PAD src0_sel:DWORD src1_sel:WORD_1
	v_add_f16_e32 v124, v105, v103
	v_fma_f16 v84, v107, v88, -v84
	v_lshrrev_b32_e32 v107, 16, v104
	v_add_f16_e32 v106, v84, v102
	v_add_f16_e32 v109, v104, v84
	v_sub_f16_e32 v84, v84, v102
	v_fmac_f16_e32 v104, -0.5, v106
	v_add_f16_e32 v106, v107, v105
	v_sub_f16_e32 v105, v105, v103
	v_fmac_f16_e32 v107, -0.5, v124
	v_add_f16_e32 v103, v106, v103
	v_add_f16_e32 v106, v109, v102
	v_mul_f16_sdwa v109, v115, v92 dst_sel:DWORD dst_unused:UNUSED_PAD src0_sel:DWORD src1_sel:WORD_1
	v_pack_b32_f16 v102, v106, v103
	v_fmamk_f16 v103, v105, 0x3aee, v104
	v_fmamk_f16 v106, v84, 0xbaee, v107
	v_fmac_f16_e32 v104, 0xbaee, v105
	v_fmac_f16_e32 v107, 0x3aee, v84
	v_mul_f16_sdwa v105, v113, v91 dst_sel:DWORD dst_unused:UNUSED_PAD src0_sel:DWORD src1_sel:WORD_1
	v_pack_b32_f16 v103, v103, v106
	v_lshrrev_b32_e32 v106, 16, v111
	v_pack_b32_f16 v84, v104, v107
	v_mul_f16_sdwa v104, v108, v90 dst_sel:DWORD dst_unused:UNUSED_PAD src0_sel:DWORD src1_sel:WORD_1
	ds_write2_b32 v239, v102, v103 offset0:11 offset1:254
	v_lshrrev_b32_e32 v102, 16, v108
	v_mul_f16_sdwa v103, v102, v90 dst_sel:DWORD dst_unused:UNUSED_PAD src0_sel:DWORD src1_sel:WORD_1
	v_fmac_f16_e32 v104, v102, v90
	v_lshrrev_b32_e32 v102, 16, v113
	v_fma_f16 v103, v108, v90, -v103
	v_add_f16_e32 v107, v106, v104
	v_fmac_f16_e32 v105, v102, v91
	v_mul_f16_sdwa v102, v102, v91 dst_sel:DWORD dst_unused:UNUSED_PAD src0_sel:DWORD src1_sel:WORD_1
	v_add_f16_e32 v108, v104, v105
	v_sub_f16_e32 v104, v104, v105
	v_add_f16_e32 v105, v107, v105
	v_fma_f16 v102, v113, v91, -v102
	v_add_f16_e32 v107, v111, v103
	v_fmac_f16_e32 v106, -0.5, v108
	v_lshrrev_b32_e32 v113, 16, v112
	v_add_f16_e32 v108, v103, v102
	v_add_f16_e32 v107, v107, v102
	v_sub_f16_e32 v102, v103, v102
	v_pack_b32_f16 v103, v107, v105
	v_fma_f16 v105, -0.5, v108, v111
	v_fmamk_f16 v108, v102, 0xbaee, v106
	v_fmac_f16_e32 v106, 0x3aee, v102
	v_fmamk_f16 v107, v104, 0x3aee, v105
	v_fmac_f16_e32 v105, 0xbaee, v104
	v_pack_b32_f16 v107, v107, v108
	v_mul_f16_sdwa v108, v114, v93 dst_sel:DWORD dst_unused:UNUSED_PAD src0_sel:DWORD src1_sel:WORD_1
	v_pack_b32_f16 v85, v105, v106
	ds_write2_b32 v232, v103, v107 offset0:4 offset1:247
	v_lshrrev_b32_e32 v103, 16, v114
	v_mul_f16_sdwa v107, v103, v93 dst_sel:DWORD dst_unused:UNUSED_PAD src0_sel:DWORD src1_sel:WORD_1
	v_fmac_f16_e32 v108, v103, v93
	v_lshrrev_b32_e32 v103, 16, v115
	v_fma_f16 v107, v114, v93, -v107
	v_fmac_f16_e32 v109, v103, v92
	v_mul_f16_sdwa v103, v103, v92 dst_sel:DWORD dst_unused:UNUSED_PAD src0_sel:DWORD src1_sel:WORD_1
	v_fma_f16 v103, v115, v92, -v103
	v_add_f16_e32 v115, v109, v108
	v_add_f16_e32 v111, v103, v107
	;; [unrolled: 1-line block ×3, first 2 shown]
	v_sub_f16_e32 v103, v103, v107
	v_fmac_f16_e32 v112, -0.5, v111
	v_add_f16_e32 v111, v113, v109
	v_sub_f16_e32 v109, v109, v108
	v_fmac_f16_e32 v113, -0.5, v115
	v_mul_f16_sdwa v115, v122, v96 dst_sel:DWORD dst_unused:UNUSED_PAD src0_sel:DWORD src1_sel:WORD_1
	v_add_f16_e32 v108, v111, v108
	v_add_f16_e32 v111, v114, v107
	v_pack_b32_f16 v107, v111, v108
	v_fmamk_f16 v108, v109, 0x3aee, v112
	v_fmamk_f16 v111, v103, 0xbaee, v113
	v_fmac_f16_e32 v112, 0xbaee, v109
	v_fmac_f16_e32 v113, 0x3aee, v103
	v_mul_f16_sdwa v109, v116, v94 dst_sel:DWORD dst_unused:UNUSED_PAD src0_sel:DWORD src1_sel:WORD_1
	v_pack_b32_f16 v108, v108, v111
	v_mul_f16_sdwa v111, v120, v95 dst_sel:DWORD dst_unused:UNUSED_PAD src0_sel:DWORD src1_sel:WORD_1
	v_pack_b32_f16 v103, v112, v113
	v_lshrrev_b32_e32 v112, 16, v117
	ds_write2_b32 v233, v107, v108 offset0:5 offset1:248
	v_lshrrev_b32_e32 v107, 16, v116
	v_mul_f16_sdwa v108, v107, v94 dst_sel:DWORD dst_unused:UNUSED_PAD src0_sel:DWORD src1_sel:WORD_1
	v_fmac_f16_e32 v109, v107, v94
	v_lshrrev_b32_e32 v107, 16, v120
	v_fma_f16 v108, v116, v94, -v108
	v_add_f16_e32 v113, v112, v109
	v_fmac_f16_e32 v111, v107, v95
	v_mul_f16_sdwa v107, v107, v95 dst_sel:DWORD dst_unused:UNUSED_PAD src0_sel:DWORD src1_sel:WORD_1
	v_add_f16_e32 v114, v109, v111
	v_sub_f16_e32 v109, v109, v111
	v_add_f16_e32 v111, v113, v111
	v_fma_f16 v107, v120, v95, -v107
	v_add_f16_e32 v113, v117, v108
	v_fmac_f16_e32 v112, -0.5, v114
	v_add_f16_e32 v114, v108, v107
	v_add_f16_e32 v113, v113, v107
	v_sub_f16_e32 v107, v108, v107
	v_pack_b32_f16 v108, v113, v111
	v_fma_f16 v111, -0.5, v114, v117
	v_fmamk_f16 v114, v107, 0xbaee, v112
	v_lshrrev_b32_e32 v117, 16, v118
	v_fmac_f16_e32 v112, 0x3aee, v107
	v_fmamk_f16 v113, v109, 0x3aee, v111
	v_fmac_f16_e32 v111, 0xbaee, v109
	v_pack_b32_f16 v113, v113, v114
	v_mul_f16_sdwa v114, v121, v97 dst_sel:DWORD dst_unused:UNUSED_PAD src0_sel:DWORD src1_sel:WORD_1
	ds_write2_b32 v235, v108, v113 offset0:6 offset1:249
	v_lshrrev_b32_e32 v108, 16, v121
	v_mul_f16_sdwa v113, v108, v97 dst_sel:DWORD dst_unused:UNUSED_PAD src0_sel:DWORD src1_sel:WORD_1
	v_fmac_f16_e32 v114, v108, v97
	v_lshrrev_b32_e32 v108, 16, v122
	v_fma_f16 v113, v121, v97, -v113
	v_fmac_f16_e32 v115, v108, v96
	v_mul_f16_sdwa v108, v108, v96 dst_sel:DWORD dst_unused:UNUSED_PAD src0_sel:DWORD src1_sel:WORD_1
	v_add_f16_e32 v121, v115, v114
	v_fma_f16 v108, v122, v96, -v108
	v_add_f16_e32 v116, v108, v113
	v_add_f16_e32 v120, v118, v108
	v_sub_f16_e32 v108, v108, v113
	v_fmac_f16_e32 v118, -0.5, v116
	v_add_f16_e32 v116, v117, v115
	v_sub_f16_e32 v115, v115, v114
	v_fmac_f16_e32 v117, -0.5, v121
	v_add_f16_e32 v114, v116, v114
	v_add_f16_e32 v116, v120, v113
	v_pack_b32_f16 v113, v116, v114
	v_fmamk_f16 v114, v115, 0x3aee, v118
	v_fmamk_f16 v116, v108, 0xbaee, v117
	v_fmac_f16_e32 v118, 0xbaee, v115
	v_mul_f16_sdwa v115, v123, v98 dst_sel:DWORD dst_unused:UNUSED_PAD src0_sel:DWORD src1_sel:WORD_1
	v_fmac_f16_e32 v117, 0x3aee, v108
	v_pack_b32_f16 v114, v114, v116
	v_pack_b32_f16 v108, v118, v117
	v_mul_f16_sdwa v117, v237, v99 dst_sel:DWORD dst_unused:UNUSED_PAD src0_sel:DWORD src1_sel:WORD_1
	ds_write2_b32 v236, v113, v114 offset0:7 offset1:250
	v_lshrrev_b32_e32 v113, 16, v123
	v_lshrrev_b32_e32 v118, 16, v68
	v_mul_f16_sdwa v114, v113, v98 dst_sel:DWORD dst_unused:UNUSED_PAD src0_sel:DWORD src1_sel:WORD_1
	v_fmac_f16_e32 v115, v113, v98
	v_lshrrev_b32_e32 v113, 16, v237
	v_fma_f16 v114, v123, v98, -v114
	v_mul_f16_sdwa v116, v113, v99 dst_sel:DWORD dst_unused:UNUSED_PAD src0_sel:DWORD src1_sel:WORD_1
	v_fmac_f16_e32 v117, v113, v99
	v_add_f16_e32 v120, v68, v114
	v_fma_f16 v116, v237, v99, -v116
	v_add_f16_e32 v121, v115, v117
	v_add_nc_u32_e32 v237, 0x5b00, v234
	v_add_f16_e32 v113, v114, v116
	v_sub_f16_e32 v114, v114, v116
	v_fmac_f16_e32 v68, -0.5, v113
	v_add_f16_e32 v113, v118, v115
	v_sub_f16_e32 v115, v115, v117
	v_fmac_f16_e32 v118, -0.5, v121
	v_add_f16_e32 v113, v113, v117
	v_add_f16_e32 v117, v120, v116
	v_fmamk_f16 v116, v115, 0x3aee, v68
	v_fmac_f16_e32 v68, 0xbaee, v115
	v_pack_b32_f16 v113, v117, v113
	v_fmamk_f16 v117, v114, 0xbaee, v118
	v_fmac_f16_e32 v118, 0x3aee, v114
	v_pack_b32_f16 v116, v116, v117
	v_pack_b32_f16 v68, v68, v118
	ds_write2_b32 v237, v113, v116 offset0:8 offset1:251
	v_add_co_u32 v113, s0, s18, v73
	ds_write_b32 v226, v69 offset:7776
	ds_write_b32 v227, v84 offset:10692
	;; [unrolled: 1-line block ×3, first 2 shown]
	v_pack_b32_f16 v69, v111, v112
	v_mul_u32_u24_sdwa v84, v216, v100 dst_sel:DWORD dst_unused:UNUSED_PAD src0_sel:WORD_0 src1_sel:DWORD
	v_add_co_ci_u32_e64 v114, null, s19, 0, s0
	ds_write_b32 v229, v103 offset:16524
	ds_write_b32 v230, v69 offset:19440
	;; [unrolled: 1-line block ×4, first 2 shown]
	v_add_co_u32 v68, vcc_lo, 0x800, v113
	v_lshrrev_b32_e32 v84, 16, v84
	v_add_co_ci_u32_e32 v69, vcc_lo, 0, v114, vcc_lo
	v_add_co_u32 v111, s0, s18, v72
	v_sub_nc_u16 v85, v216, v84
	s_waitcnt lgkmcnt(0)
	s_barrier
	buffer_gl0_inv
	global_load_dwordx2 v[68:69], v[68:69], off offset:856
	v_add_co_ci_u32_e64 v112, null, s19, 0, s0
	v_add_co_u32 v72, vcc_lo, 0x800, v111
	v_lshrrev_b16 v85, 1, v85
	v_add_co_ci_u32_e32 v73, vcc_lo, 0, v112, vcc_lo
	ds_read2_b32 v[117:118], v131 offset1:243
	v_add_nc_u16 v101, v85, v84
	global_load_dwordx2 v[84:85], v[72:73], off offset:856
	ds_read2_b32 v[72:73], v172 offset0:6 offset1:249
	s_waitcnt lgkmcnt(1)
	v_lshrrev_b32_e32 v120, 16, v117
	v_lshrrev_b32_e32 v254, 16, v118
	s_waitcnt lgkmcnt(0)
	v_lshrrev_b32_e32 v104, 16, v72
	v_lshrrev_b32_e32 v106, 16, v73
	s_waitcnt vmcnt(1)
	v_mul_f16_sdwa v102, v104, v69 dst_sel:DWORD dst_unused:UNUSED_PAD src0_sel:DWORD src1_sel:WORD_1
	v_mul_f16_sdwa v108, v72, v69 dst_sel:DWORD dst_unused:UNUSED_PAD src0_sel:DWORD src1_sel:WORD_1
	v_fma_f16 v105, v72, v69, -v102
	v_mul_u32_u24_sdwa v72, v215, v100 dst_sel:DWORD dst_unused:UNUSED_PAD src0_sel:WORD_0 src1_sel:DWORD
	v_fmac_f16_e32 v108, v104, v69
	s_waitcnt vmcnt(0)
	v_mul_f16_sdwa v102, v106, v85 dst_sel:DWORD dst_unused:UNUSED_PAD src0_sel:DWORD src1_sel:WORD_1
	v_lshrrev_b32_e32 v72, 16, v72
	v_mul_f16_sdwa v250, v73, v85 dst_sel:DWORD dst_unused:UNUSED_PAD src0_sel:DWORD src1_sel:WORD_1
	v_fma_f16 v130, v73, v85, -v102
	v_sub_nc_u16 v73, v215, v72
	v_fmac_f16_e32 v250, v106, v85
	v_lshrrev_b16 v73, 1, v73
	v_add_nc_u16 v72, v73, v72
	v_lshrrev_b16 v73, 9, v101
	v_lshrrev_b16 v72, 9, v72
	v_mul_lo_u16 v73, 0x2d9, v73
	v_mul_lo_u16 v72, 0x2d9, v72
	v_sub_nc_u16 v115, v216, v73
	v_sub_nc_u16 v116, v215, v72
	v_lshlrev_b16 v73, 3, v115
	v_lshlrev_b16 v72, 3, v116
	v_and_b32_e32 v73, 0xffff, v73
	v_and_b32_e32 v72, 0xffff, v72
	v_add_co_u32 v73, s0, s18, v73
	v_add_co_ci_u32_e64 v101, null, s19, 0, s0
	v_add_co_u32 v72, s0, s18, v72
	v_add_co_u32 v102, vcc_lo, 0x800, v73
	v_add_co_ci_u32_e32 v103, vcc_lo, 0, v101, vcc_lo
	v_add_co_u32 v106, vcc_lo, 0x800, v72
	v_mul_u32_u24_sdwa v72, v214, v100 dst_sel:DWORD dst_unused:UNUSED_PAD src0_sel:WORD_0 src1_sel:DWORD
	v_add_co_ci_u32_e64 v73, null, s19, 0, s0
	v_lshrrev_b32_e32 v72, 16, v72
	v_add_co_ci_u32_e32 v107, vcc_lo, 0, v73, vcc_lo
	v_sub_nc_u16 v73, v214, v72
	v_lshrrev_b16 v73, 1, v73
	v_add_nc_u16 v100, v73, v72
	ds_read2_b32 v[72:73], v173 offset0:8 offset1:251
	s_waitcnt lgkmcnt(0)
	v_lshrrev_b32_e32 v101, 16, v73
	v_mul_f16_sdwa v104, v73, v68 dst_sel:DWORD dst_unused:UNUSED_PAD src0_sel:DWORD src1_sel:WORD_1
	v_fmac_f16_e32 v104, v101, v68
	v_mul_f16_sdwa v101, v101, v68 dst_sel:DWORD dst_unused:UNUSED_PAD src0_sel:DWORD src1_sel:WORD_1
	v_add_f16_e32 v109, v104, v108
	v_fma_f16 v73, v73, v68, -v101
	v_add_f16_e32 v121, v120, v104
	v_sub_f16_e32 v104, v104, v108
	v_fmac_f16_e32 v120, -0.5, v109
	v_add_f16_e32 v101, v117, v73
	v_add_f16_e32 v109, v73, v105
	v_sub_f16_e32 v73, v73, v105
	v_add_f16_e32 v101, v101, v105
	v_fma_f16 v105, -0.5, v109, v117
	v_fmamk_f16 v117, v104, 0x3aee, v105
	v_fmac_f16_e32 v105, 0xbaee, v104
	v_add_f16_e32 v104, v121, v108
	v_fmamk_f16 v121, v73, 0xbaee, v120
	v_fmac_f16_e32 v120, 0x3aee, v73
	v_lshrrev_b16 v73, 9, v100
	v_pack_b32_f16 v251, v101, v104
	v_pack_b32_f16 v117, v117, v121
	;; [unrolled: 1-line block ×3, first 2 shown]
	v_mul_lo_u16 v73, 0x2d9, v73
	ds_read2_b32 v[120:121], v166 offset0:6 offset1:249
	v_sub_nc_u16 v73, v214, v73
	v_lshlrev_b16 v100, 3, v73
	v_and_b32_e32 v100, 0xffff, v100
	v_add_co_u32 v100, s0, s18, v100
	s_waitcnt lgkmcnt(0)
	v_mul_f16_sdwa v253, v120, v84 dst_sel:DWORD dst_unused:UNUSED_PAD src0_sel:DWORD src1_sel:WORD_1
	v_add_co_ci_u32_e64 v109, null, s19, 0, s0
	v_add_co_u32 v108, vcc_lo, 0x800, v100
	v_lshrrev_b32_e32 v100, 16, v120
	v_add_co_u32 v104, s0, s18, v77
	v_add_co_ci_u32_e64 v105, null, s19, 0, s0
	v_fmac_f16_e32 v253, v100, v84
	v_mul_f16_sdwa v100, v100, v84 dst_sel:DWORD dst_unused:UNUSED_PAD src0_sel:DWORD src1_sel:WORD_1
	v_add_co_ci_u32_e32 v109, vcc_lo, 0, v109, vcc_lo
	v_add_co_u32 v110, s0, s18, v110
	v_fma_f16 v120, v120, v84, -v100
	v_add_f16_e32 v101, v254, v253
	v_add_f16_e32 v100, v118, v120
	v_add_f16_e32 v101, v101, v250
	v_add_f16_e32 v100, v100, v130
	v_pack_b32_f16 v255, v100, v101
	v_add_co_u32 v100, vcc_lo, 0x800, v104
	v_add_co_ci_u32_e32 v101, vcc_lo, 0, v105, vcc_lo
	s_clause 0x3
	global_load_dwordx2 v[100:101], v[100:101], off offset:856
	global_load_dwordx2 v[102:103], v[102:103], off offset:856
	;; [unrolled: 1-line block ×4, first 2 shown]
	ds_read_b32 v77, v131 offset:25272
	ds_read2_b32 v[122:123], v160 offset0:6 offset1:249
	ds_read2_b32 v[124:125], v162 offset0:12 offset1:255
	;; [unrolled: 1-line block ×8, first 2 shown]
	ds_read2_b32 v[248:249], v140 offset1:243
	s_waitcnt vmcnt(0) lgkmcnt(0)
	s_barrier
	buffer_gl0_inv
	ds_write_b32 v131, v117 offset:2916
	ds_write_b32 v131, v252 offset:5832
	ds_write2_b32 v131, v251, v255 offset1:243
	v_add_f16_e32 v117, v120, v130
	v_fmac_f16_e32 v118, -0.5, v117
	v_add_f16_e32 v117, v253, v250
	v_sub_f16_e32 v250, v253, v250
	v_lshrrev_b32_e32 v252, 16, v122
	v_fmac_f16_e32 v254, -0.5, v117
	v_sub_f16_e32 v117, v120, v130
	v_fmamk_f16 v120, v250, 0x3aee, v118
	v_fmac_f16_e32 v118, 0xbaee, v250
	v_fmamk_f16 v130, v117, 0xbaee, v254
	v_fmac_f16_e32 v254, 0x3aee, v117
	v_pack_b32_f16 v120, v120, v130
	v_pack_b32_f16 v117, v118, v254
	v_lshrrev_b32_e32 v118, 16, v121
	v_mul_f16_sdwa v250, v118, v100 dst_sel:DWORD dst_unused:UNUSED_PAD src0_sel:DWORD src1_sel:WORD_1
	v_mul_f16_sdwa v251, v124, v101 dst_sel:DWORD dst_unused:UNUSED_PAD src0_sel:DWORD src1_sel:WORD_1
	v_fma_f16 v250, v121, v100, -v250
	v_mul_f16_sdwa v121, v121, v100 dst_sel:DWORD dst_unused:UNUSED_PAD src0_sel:DWORD src1_sel:WORD_1
	v_fmac_f16_e32 v121, v118, v100
	v_lshrrev_b32_e32 v118, 16, v124
	v_add_f16_e32 v253, v252, v121
	v_fmac_f16_e32 v251, v118, v101
	v_mul_f16_sdwa v118, v118, v101 dst_sel:DWORD dst_unused:UNUSED_PAD src0_sel:DWORD src1_sel:WORD_1
	v_add_f16_e32 v254, v121, v251
	v_fma_f16 v118, v124, v101, -v118
	v_sub_f16_e32 v121, v121, v251
	v_add_f16_e32 v251, v253, v251
	v_add_f16_e32 v124, v122, v250
	v_fmac_f16_e32 v252, -0.5, v254
	v_add_f16_e32 v253, v250, v118
	v_add_f16_e32 v124, v124, v118
	v_sub_f16_e32 v118, v250, v118
	v_fma_f16 v122, -0.5, v253, v122
	v_pack_b32_f16 v124, v124, v251
	v_fmamk_f16 v250, v118, 0xbaee, v252
	v_fmamk_f16 v130, v121, 0x3aee, v122
	v_fmac_f16_e32 v122, 0xbaee, v121
	v_fmac_f16_e32 v252, 0x3aee, v118
	v_lshrrev_b32_e32 v118, 16, v126
	v_mul_f16_sdwa v121, v126, v68 dst_sel:DWORD dst_unused:UNUSED_PAD src0_sel:DWORD src1_sel:WORD_1
	v_pack_b32_f16 v130, v130, v250
	ds_write_b32 v131, v117 offset:6804
	ds_write_b32 v131, v124 offset:1944
	ds_write2_b32 v154, v120, v130 offset0:12 offset1:255
	v_lshrrev_b32_e32 v117, 16, v125
	v_fmac_f16_e32 v121, v118, v68
	v_mul_f16_sdwa v118, v118, v68 dst_sel:DWORD dst_unused:UNUSED_PAD src0_sel:DWORD src1_sel:WORD_1
	v_mul_f16_sdwa v124, v125, v69 dst_sel:DWORD dst_unused:UNUSED_PAD src0_sel:DWORD src1_sel:WORD_1
	;; [unrolled: 1-line block ×3, first 2 shown]
	v_fma_f16 v118, v126, v68, -v118
	v_fmac_f16_e32 v124, v117, v69
	v_pack_b32_f16 v117, v122, v252
	v_fma_f16 v120, v125, v69, -v120
	v_lshrrev_b32_e32 v125, 16, v123
	v_add_f16_e32 v122, v123, v118
	v_add_f16_e32 v126, v125, v121
	;; [unrolled: 1-line block ×4, first 2 shown]
	v_pack_b32_f16 v122, v122, v126
	ds_write2_b32 v173, v117, v122 offset0:8 offset1:251
	v_add_f16_e32 v117, v118, v120
	v_fmac_f16_e32 v123, -0.5, v117
	v_add_f16_e32 v117, v121, v124
	v_sub_f16_e32 v121, v121, v124
	v_mul_f16_sdwa v124, v240, v85 dst_sel:DWORD dst_unused:UNUSED_PAD src0_sel:DWORD src1_sel:WORD_1
	v_fmac_f16_e32 v125, -0.5, v117
	v_sub_f16_e32 v117, v118, v120
	v_fmamk_f16 v118, v121, 0x3aee, v123
	v_fmac_f16_e32 v123, 0xbaee, v121
	v_lshrrev_b32_e32 v121, 16, v127
	v_fmamk_f16 v120, v117, 0xbaee, v125
	v_fmac_f16_e32 v125, 0x3aee, v117
	v_mul_f16_sdwa v122, v121, v84 dst_sel:DWORD dst_unused:UNUSED_PAD src0_sel:DWORD src1_sel:WORD_1
	v_pack_b32_f16 v118, v118, v120
	v_pack_b32_f16 v117, v123, v125
	v_mul_f16_sdwa v123, v127, v84 dst_sel:DWORD dst_unused:UNUSED_PAD src0_sel:DWORD src1_sel:WORD_1
	v_fma_f16 v122, v127, v84, -v122
	v_lshrrev_b32_e32 v125, 16, v128
	v_fmac_f16_e32 v123, v121, v84
	v_lshrrev_b32_e32 v121, 16, v240
	v_add_f16_e32 v127, v125, v123
	v_mul_f16_sdwa v120, v121, v85 dst_sel:DWORD dst_unused:UNUSED_PAD src0_sel:DWORD src1_sel:WORD_1
	v_fmac_f16_e32 v124, v121, v85
	v_fma_f16 v120, v240, v85, -v120
	v_add_f16_e32 v126, v123, v124
	v_sub_f16_e32 v123, v123, v124
	v_add_f16_e32 v121, v122, v120
	v_fmac_f16_e32 v125, -0.5, v126
	v_sub_f16_e32 v126, v122, v120
	v_add_f16_e32 v122, v128, v122
	v_fma_f16 v121, -0.5, v121, v128
	v_fmamk_f16 v240, v126, 0xbaee, v125
	v_add_f16_e32 v120, v122, v120
	v_add_f16_e32 v122, v127, v124
	v_fmamk_f16 v130, v123, 0x3aee, v121
	v_lshrrev_b32_e32 v127, 16, v129
	v_fmac_f16_e32 v121, 0xbaee, v123
	v_fmac_f16_e32 v125, 0x3aee, v126
	v_lshrrev_b32_e32 v126, 16, v248
	v_pack_b32_f16 v130, v130, v240
	v_mul_f16_sdwa v240, v241, v101 dst_sel:DWORD dst_unused:UNUSED_PAD src0_sel:DWORD src1_sel:WORD_1
	ds_write2_b32 v157, v118, v130 offset0:4 offset1:247
	v_lshrrev_b32_e32 v118, 16, v241
	v_mul_f16_sdwa v130, v118, v101 dst_sel:DWORD dst_unused:UNUSED_PAD src0_sel:DWORD src1_sel:WORD_1
	v_fmac_f16_e32 v240, v118, v101
	v_pack_b32_f16 v118, v120, v122
	v_lshrrev_b32_e32 v120, 16, v242
	v_mul_f16_sdwa v122, v242, v100 dst_sel:DWORD dst_unused:UNUSED_PAD src0_sel:DWORD src1_sel:WORD_1
	v_fma_f16 v130, v241, v101, -v130
	v_fmac_f16_e32 v122, v120, v100
	v_mul_f16_sdwa v120, v120, v100 dst_sel:DWORD dst_unused:UNUSED_PAD src0_sel:DWORD src1_sel:WORD_1
	v_add_f16_e32 v128, v127, v122
	v_fma_f16 v120, v242, v100, -v120
	v_mul_f16_sdwa v242, v246, v103 dst_sel:DWORD dst_unused:UNUSED_PAD src0_sel:DWORD src1_sel:WORD_1
	v_add_f16_e32 v128, v128, v240
	v_add_f16_e32 v124, v129, v120
	;; [unrolled: 1-line block ×3, first 2 shown]
	v_pack_b32_f16 v124, v124, v128
	v_mul_f16_sdwa v128, v248, v106 dst_sel:DWORD dst_unused:UNUSED_PAD src0_sel:DWORD src1_sel:WORD_1
	ds_write2_b32 v166, v118, v124 offset0:6 offset1:249
	v_add_f16_e32 v118, v120, v130
	v_fmac_f16_e32 v128, v126, v106
	v_fmac_f16_e32 v129, -0.5, v118
	v_add_f16_e32 v118, v122, v240
	v_sub_f16_e32 v122, v122, v240
	v_lshrrev_b32_e32 v240, 16, v247
	v_fmac_f16_e32 v127, -0.5, v118
	v_sub_f16_e32 v118, v120, v130
	v_fmamk_f16 v120, v122, 0x3aee, v129
	v_fmac_f16_e32 v129, 0xbaee, v122
	v_lshrrev_b32_e32 v122, 16, v72
	v_mul_f16_sdwa v241, v240, v107 dst_sel:DWORD dst_unused:UNUSED_PAD src0_sel:DWORD src1_sel:WORD_1
	v_fmamk_f16 v124, v118, 0xbaee, v127
	v_fmac_f16_e32 v127, 0x3aee, v118
	v_pack_b32_f16 v118, v121, v125
	v_mul_f16_sdwa v125, v243, v102 dst_sel:DWORD dst_unused:UNUSED_PAD src0_sel:DWORD src1_sel:WORD_1
	v_fma_f16 v241, v247, v107, -v241
	v_pack_b32_f16 v120, v120, v124
	ds_write2_b32 v148, v120, v117 offset0:10 offset1:253
	v_pack_b32_f16 v117, v129, v127
	v_mul_f16_sdwa v120, v249, v108 dst_sel:DWORD dst_unused:UNUSED_PAD src0_sel:DWORD src1_sel:WORD_1
	v_mul_f16_sdwa v127, v126, v106 dst_sel:DWORD dst_unused:UNUSED_PAD src0_sel:DWORD src1_sel:WORD_1
	v_lshrrev_b32_e32 v129, 16, v246
	v_lshrrev_b32_e32 v126, 16, v245
	ds_write2_b32 v140, v118, v117 offset1:243
	v_lshrrev_b32_e32 v117, 16, v77
	v_fma_f16 v127, v248, v106, -v127
	v_mul_f16_sdwa v130, v129, v103 dst_sel:DWORD dst_unused:UNUSED_PAD src0_sel:DWORD src1_sel:WORD_1
	v_fmac_f16_e32 v242, v129, v103
	v_mul_f16_sdwa v118, v117, v109 dst_sel:DWORD dst_unused:UNUSED_PAD src0_sel:DWORD src1_sel:WORD_1
	v_add_f16_e32 v129, v245, v127
	v_fma_f16 v130, v246, v103, -v130
	v_fma_f16 v118, v77, v109, -v118
	v_mul_f16_sdwa v77, v77, v109 dst_sel:DWORD dst_unused:UNUSED_PAD src0_sel:DWORD src1_sel:WORD_1
	v_fmac_f16_e32 v77, v117, v109
	v_lshrrev_b32_e32 v117, 16, v249
	v_fmac_f16_e32 v120, v117, v108
	v_mul_f16_sdwa v117, v117, v108 dst_sel:DWORD dst_unused:UNUSED_PAD src0_sel:DWORD src1_sel:WORD_1
	v_fma_f16 v117, v249, v108, -v117
	v_add_f16_e32 v121, v117, v118
	v_add_f16_e32 v123, v72, v117
	v_sub_f16_e32 v117, v117, v118
	v_fmac_f16_e32 v72, -0.5, v121
	v_sub_f16_e32 v121, v120, v77
	v_add_f16_e32 v118, v123, v118
	v_fmamk_f16 v124, v121, 0x3aee, v72
	v_fmac_f16_e32 v72, 0xbaee, v121
	v_add_f16_e32 v121, v120, v77
	v_add_f16_e32 v120, v122, v120
	v_fmac_f16_e32 v122, -0.5, v121
	v_add_f16_e32 v77, v120, v77
	v_fmamk_f16 v121, v117, 0xbaee, v122
	v_fmac_f16_e32 v122, 0x3aee, v117
	v_lshrrev_b32_e32 v117, 16, v243
	v_pack_b32_f16 v72, v72, v122
	v_mul_f16_sdwa v122, v117, v102 dst_sel:DWORD dst_unused:UNUSED_PAD src0_sel:DWORD src1_sel:WORD_1
	v_fmac_f16_e32 v125, v117, v102
	v_add_f16_e32 v117, v127, v241
	v_fma_f16 v122, v243, v102, -v122
	v_mul_f16_sdwa v243, v247, v107 dst_sel:DWORD dst_unused:UNUSED_PAD src0_sel:DWORD src1_sel:WORD_1
	v_fmac_f16_e32 v245, -0.5, v117
	v_add_f16_e32 v246, v125, v242
	v_fmac_f16_e32 v243, v240, v107
	v_sub_f16_e32 v117, v128, v243
	v_fmamk_f16 v240, v117, 0x3aee, v245
	v_fmac_f16_e32 v245, 0xbaee, v117
	v_add_f16_e32 v117, v128, v243
	v_add_f16_e32 v128, v126, v128
	v_fmac_f16_e32 v126, -0.5, v117
	v_sub_f16_e32 v117, v127, v241
	v_add_f16_e32 v128, v128, v243
	v_fmamk_f16 v127, v117, 0xbaee, v126
	v_fmac_f16_e32 v126, 0x3aee, v117
	v_add_f16_e32 v117, v122, v130
	v_pack_b32_f16 v126, v245, v126
	v_lshrrev_b32_e32 v245, 16, v244
	v_fma_f16 v117, -0.5, v117, v244
	v_add_f16_e32 v244, v244, v122
	v_sub_f16_e32 v122, v122, v130
	v_add_f16_e32 v247, v245, v125
	v_fmac_f16_e32 v245, -0.5, v246
	v_sub_f16_e32 v125, v125, v242
	v_add_f16_e32 v244, v244, v130
	v_fmamk_f16 v130, v125, 0x3aee, v117
	v_fmac_f16_e32 v117, 0xbaee, v125
	v_add_f16_e32 v125, v247, v242
	v_fmamk_f16 v242, v122, 0xbaee, v245
	v_fmac_f16_e32 v245, 0x3aee, v122
	v_add_f16_e32 v122, v129, v241
	v_lshlrev_b32_sdwa v241, v76, v116 dst_sel:DWORD dst_unused:UNUSED_PAD src0_sel:DWORD src1_sel:WORD_0
	v_pack_b32_f16 v120, v244, v125
	v_pack_b32_f16 v123, v130, v242
	v_lshlrev_b32_sdwa v242, v76, v115 dst_sel:DWORD dst_unused:UNUSED_PAD src0_sel:DWORD src1_sel:WORD_0
	v_pack_b32_f16 v117, v117, v245
	v_pack_b32_f16 v115, v122, v128
	ds_write_b32 v242, v120 offset:17496
	ds_write_b32 v242, v123 offset:20412
	;; [unrolled: 1-line block ×3, first 2 shown]
	v_pack_b32_f16 v117, v240, v127
	v_lshlrev_b32_sdwa v240, v76, v73 dst_sel:DWORD dst_unused:UNUSED_PAD src0_sel:DWORD src1_sel:WORD_0
	v_pack_b32_f16 v73, v118, v77
	v_pack_b32_f16 v76, v124, v121
	ds_write_b32 v241, v115 offset:17496
	ds_write_b32 v241, v117 offset:20412
	;; [unrolled: 1-line block ×6, first 2 shown]
	v_add_co_u32 v72, vcc_lo, 0x2000, v113
	v_add_co_ci_u32_e32 v73, vcc_lo, 0, v114, vcc_lo
	v_add_co_u32 v76, vcc_lo, 0x2000, v111
	v_add_co_ci_u32_e32 v77, vcc_lo, 0, v112, vcc_lo
	s_waitcnt lgkmcnt(0)
	s_barrier
	buffer_gl0_inv
	s_clause 0x1
	global_load_dwordx2 v[72:73], v[72:73], off offset:544
	global_load_dwordx2 v[76:77], v[76:77], off offset:544
	ds_read2_b32 v[111:112], v172 offset0:6 offset1:249
	ds_read2_b32 v[122:123], v173 offset0:8 offset1:251
	ds_read2_b32 v[243:244], v131 offset1:243
	v_add_co_u32 v104, vcc_lo, 0x2000, v104
	v_add_co_ci_u32_e32 v105, vcc_lo, 0, v105, vcc_lo
	v_add_co_u32 v110, vcc_lo, 0x2000, v110
	s_waitcnt lgkmcnt(2)
	v_lshrrev_b32_e32 v113, 16, v111
	s_waitcnt lgkmcnt(0)
	v_lshrrev_b32_e32 v251, 16, v244
	s_waitcnt vmcnt(1)
	v_mul_f16_sdwa v114, v111, v73 dst_sel:DWORD dst_unused:UNUSED_PAD src0_sel:DWORD src1_sel:WORD_1
	s_waitcnt vmcnt(0)
	v_mul_f16_sdwa v248, v112, v77 dst_sel:DWORD dst_unused:UNUSED_PAD src0_sel:DWORD src1_sel:WORD_1
	v_fmac_f16_e32 v114, v113, v73
	v_mul_f16_sdwa v113, v113, v73 dst_sel:DWORD dst_unused:UNUSED_PAD src0_sel:DWORD src1_sel:WORD_1
	v_fma_f16 v111, v111, v73, -v113
	v_lshrrev_b32_e32 v113, 16, v112
	v_mul_f16_sdwa v115, v113, v77 dst_sel:DWORD dst_unused:UNUSED_PAD src0_sel:DWORD src1_sel:WORD_1
	v_fmac_f16_e32 v248, v113, v77
	v_fma_f16 v247, v112, v77, -v115
	v_lshrrev_b32_e32 v112, 16, v123
	v_mul_f16_sdwa v115, v123, v72 dst_sel:DWORD dst_unused:UNUSED_PAD src0_sel:DWORD src1_sel:WORD_1
	v_fmac_f16_e32 v115, v112, v72
	v_mul_f16_sdwa v112, v112, v72 dst_sel:DWORD dst_unused:UNUSED_PAD src0_sel:DWORD src1_sel:WORD_1
	v_sub_f16_e32 v117, v115, v114
	v_fma_f16 v112, v123, v72, -v112
	v_add_f16_e32 v120, v115, v114
	v_add_f16_e32 v116, v112, v111
	v_fma_f16 v116, -0.5, v116, v243
	v_fmamk_f16 v118, v117, 0x3aee, v116
	v_fmac_f16_e32 v116, 0xbaee, v117
	v_lshrrev_b32_e32 v117, 16, v243
	v_add_f16_e32 v115, v117, v115
	v_fmac_f16_e32 v117, -0.5, v120
	v_sub_f16_e32 v120, v112, v111
	v_add_f16_e32 v112, v243, v112
	v_fmamk_f16 v121, v120, 0xbaee, v117
	v_fmac_f16_e32 v117, 0x3aee, v120
	v_add_f16_e32 v111, v112, v111
	v_add_f16_e32 v112, v115, v114
	v_pack_b32_f16 v114, v118, v121
	v_pack_b32_f16 v115, v116, v117
	ds_write_b32 v131, v114 offset:8748
	ds_write_b32 v131, v115 offset:17496
	ds_read2_b32 v[245:246], v166 offset0:6 offset1:249
	v_pack_b32_f16 v249, v111, v112
	s_waitcnt lgkmcnt(0)
	v_lshrrev_b32_e32 v111, 16, v245
	v_mul_f16_sdwa v250, v245, v76 dst_sel:DWORD dst_unused:UNUSED_PAD src0_sel:DWORD src1_sel:WORD_1
	v_fmac_f16_e32 v250, v111, v76
	v_mul_f16_sdwa v111, v111, v76 dst_sel:DWORD dst_unused:UNUSED_PAD src0_sel:DWORD src1_sel:WORD_1
	v_add_f16_e32 v112, v251, v250
	v_fma_f16 v245, v245, v76, -v111
	v_add_f16_e32 v112, v112, v248
	v_add_f16_e32 v111, v244, v245
	;; [unrolled: 1-line block ×3, first 2 shown]
	v_pack_b32_f16 v252, v111, v112
	ds_read_b32 v243, v131 offset:25272
	ds_read2_b32 v[129:130], v160 offset0:6 offset1:249
	ds_read2_b32 v[111:112], v162 offset0:12 offset1:255
	;; [unrolled: 1-line block ×8, first 2 shown]
	ds_read2_b32 v[123:124], v140 offset1:243
	global_load_dwordx2 v[104:105], v[104:105], off offset:544
	ds_write2_b32 v131, v249, v252 offset1:243
	v_add_f16_e32 v249, v245, v247
	v_sub_f16_e32 v245, v245, v247
	v_fmac_f16_e32 v244, -0.5, v249
	v_add_f16_e32 v249, v250, v248
	v_sub_f16_e32 v248, v250, v248
	v_fmac_f16_e32 v251, -0.5, v249
	v_fmamk_f16 v247, v248, 0x3aee, v244
	v_fmac_f16_e32 v244, 0xbaee, v248
	v_fmamk_f16 v248, v245, 0xbaee, v251
	v_fmac_f16_e32 v251, 0x3aee, v245
	v_lshrrev_b32_e32 v245, 16, v246
	v_pack_b32_f16 v247, v247, v248
	v_pack_b32_f16 v244, v244, v251
	s_waitcnt lgkmcnt(9)
	v_lshrrev_b32_e32 v251, 16, v129
	s_waitcnt vmcnt(0)
	v_mul_f16_sdwa v249, v245, v104 dst_sel:DWORD dst_unused:UNUSED_PAD src0_sel:DWORD src1_sel:WORD_1
	s_waitcnt lgkmcnt(8)
	v_mul_f16_sdwa v250, v111, v105 dst_sel:DWORD dst_unused:UNUSED_PAD src0_sel:DWORD src1_sel:WORD_1
	v_fma_f16 v249, v246, v104, -v249
	v_mul_f16_sdwa v246, v246, v104 dst_sel:DWORD dst_unused:UNUSED_PAD src0_sel:DWORD src1_sel:WORD_1
	v_fmac_f16_e32 v246, v245, v104
	v_lshrrev_b32_e32 v245, 16, v111
	v_add_f16_e32 v253, v251, v246
	v_fmac_f16_e32 v250, v245, v105
	v_mul_f16_sdwa v245, v245, v105 dst_sel:DWORD dst_unused:UNUSED_PAD src0_sel:DWORD src1_sel:WORD_1
	v_add_f16_e32 v252, v246, v250
	v_fma_f16 v245, v111, v105, -v245
	v_sub_f16_e32 v246, v246, v250
	v_fmac_f16_e32 v251, -0.5, v252
	v_add_f16_e32 v111, v249, v245
	v_sub_f16_e32 v248, v249, v245
	v_fma_f16 v111, -0.5, v111, v129
	v_fmamk_f16 v254, v248, 0xbaee, v251
	v_fmac_f16_e32 v251, 0x3aee, v248
	v_add_f16_e32 v129, v129, v249
	v_fmamk_f16 v252, v246, 0x3aee, v111
	v_fmac_f16_e32 v111, 0xbaee, v246
	v_add_f16_e32 v129, v129, v245
	v_add_f16_e32 v245, v253, v250
	v_pack_b32_f16 v252, v252, v254
	v_pack_b32_f16 v111, v111, v251
	;; [unrolled: 1-line block ×3, first 2 shown]
	ds_write2_b32 v166, v247, v252 offset0:6 offset1:249
	ds_write2_b32 v169, v244, v111 offset0:9 offset1:252
	v_add_co_ci_u32_e64 v111, null, s19, 0, s0
	v_lshrrev_b32_e32 v244, 16, v112
	v_lshrrev_b32_e32 v247, 16, v130
	v_add_co_ci_u32_e32 v111, vcc_lo, 0, v111, vcc_lo
	global_load_dwordx2 v[110:111], v[110:111], off offset:544
	s_waitcnt vmcnt(0)
	v_mul_f16_sdwa v246, v244, v111 dst_sel:DWORD dst_unused:UNUSED_PAD src0_sel:DWORD src1_sel:WORD_1
	s_waitcnt lgkmcnt(9)
	v_mul_f16_sdwa v245, v113, v110 dst_sel:DWORD dst_unused:UNUSED_PAD src0_sel:DWORD src1_sel:WORD_1
	v_fma_f16 v246, v112, v111, -v246
	v_mul_f16_sdwa v112, v112, v111 dst_sel:DWORD dst_unused:UNUSED_PAD src0_sel:DWORD src1_sel:WORD_1
	v_fmac_f16_e32 v112, v244, v111
	v_lshrrev_b32_e32 v244, 16, v113
	v_fmac_f16_e32 v245, v244, v110
	v_mul_f16_sdwa v244, v244, v110 dst_sel:DWORD dst_unused:UNUSED_PAD src0_sel:DWORD src1_sel:WORD_1
	v_add_f16_e32 v248, v247, v245
	v_fma_f16 v113, v113, v110, -v244
	v_add_f16_e32 v248, v248, v112
	v_add_f16_e32 v244, v130, v113
	;; [unrolled: 1-line block ×3, first 2 shown]
	v_pack_b32_f16 v244, v244, v248
	ds_write2_b32 v160, v129, v244 offset0:6 offset1:249
	v_add_f16_e32 v129, v113, v246
	v_sub_f16_e32 v113, v113, v246
	v_fmac_f16_e32 v130, -0.5, v129
	v_add_f16_e32 v129, v245, v112
	v_sub_f16_e32 v112, v245, v112
	v_fmac_f16_e32 v247, -0.5, v129
	v_fmamk_f16 v129, v112, 0x3aee, v130
	v_fmac_f16_e32 v130, 0xbaee, v112
	v_lshlrev_b32_e32 v112, 3, v217
	v_lshrrev_b32_e32 v217, 16, v114
	v_fmamk_f16 v244, v113, 0xbaee, v247
	v_fmac_f16_e32 v247, 0x3aee, v113
	v_add_co_u32 v112, s0, s18, v112
	v_add_co_ci_u32_e64 v113, null, s19, 0, s0
	v_pack_b32_f16 v130, v130, v247
	v_add_co_u32 v112, vcc_lo, 0x2000, v112
	v_add_co_ci_u32_e32 v113, vcc_lo, 0, v113, vcc_lo
	s_waitcnt lgkmcnt(9)
	v_lshrrev_b32_e32 v247, 16, v127
	v_pack_b32_f16 v129, v129, v244
	global_load_dwordx2 v[112:113], v[112:113], off offset:544
	s_waitcnt vmcnt(0)
	v_mul_f16_sdwa v245, v217, v112 dst_sel:DWORD dst_unused:UNUSED_PAD src0_sel:DWORD src1_sel:WORD_1
	s_waitcnt lgkmcnt(8)
	v_mul_f16_sdwa v246, v115, v113 dst_sel:DWORD dst_unused:UNUSED_PAD src0_sel:DWORD src1_sel:WORD_1
	v_fma_f16 v245, v114, v112, -v245
	v_mul_f16_sdwa v114, v114, v112 dst_sel:DWORD dst_unused:UNUSED_PAD src0_sel:DWORD src1_sel:WORD_1
	v_fmac_f16_e32 v114, v217, v112
	v_lshrrev_b32_e32 v217, 16, v115
	v_add_f16_e32 v249, v247, v114
	v_fmac_f16_e32 v246, v217, v113
	v_mul_f16_sdwa v217, v217, v113 dst_sel:DWORD dst_unused:UNUSED_PAD src0_sel:DWORD src1_sel:WORD_1
	v_add_f16_e32 v248, v114, v246
	v_fma_f16 v217, v115, v113, -v217
	v_sub_f16_e32 v114, v114, v246
	v_fmac_f16_e32 v247, -0.5, v248
	v_add_f16_e32 v115, v245, v217
	v_sub_f16_e32 v244, v245, v217
	v_fma_f16 v115, -0.5, v115, v127
	v_fmamk_f16 v250, v244, 0xbaee, v247
	v_fmac_f16_e32 v247, 0x3aee, v244
	v_add_f16_e32 v127, v127, v245
	v_fmamk_f16 v248, v114, 0x3aee, v115
	v_fmac_f16_e32 v115, 0xbaee, v114
	v_add_f16_e32 v127, v127, v217
	v_lshrrev_b32_e32 v217, 16, v128
	v_pack_b32_f16 v248, v248, v250
	v_pack_b32_f16 v114, v115, v247
	ds_write2_b32 v157, v129, v248 offset0:4 offset1:247
	ds_write2_b32 v170, v130, v114 offset0:7 offset1:250
	v_lshlrev_b32_e32 v114, 3, v119
	v_lshrrev_b32_e32 v119, 16, v116
	v_add_f16_e32 v130, v249, v246
	v_add_co_u32 v114, s0, s18, v114
	v_add_co_ci_u32_e64 v115, null, s19, 0, s0
	v_add_co_u32 v114, vcc_lo, 0x2000, v114
	v_add_co_ci_u32_e32 v115, vcc_lo, 0, v115, vcc_lo
	global_load_dwordx2 v[114:115], v[114:115], off offset:544
	s_waitcnt vmcnt(0)
	v_mul_f16_sdwa v129, v119, v115 dst_sel:DWORD dst_unused:UNUSED_PAD src0_sel:DWORD src1_sel:WORD_1
	v_fma_f16 v129, v116, v115, -v129
	v_mul_f16_sdwa v116, v116, v115 dst_sel:DWORD dst_unused:UNUSED_PAD src0_sel:DWORD src1_sel:WORD_1
	v_fmac_f16_e32 v116, v119, v115
	v_pack_b32_f16 v119, v127, v130
	s_waitcnt lgkmcnt(9)
	v_lshrrev_b32_e32 v127, 16, v117
	v_mul_f16_sdwa v130, v117, v114 dst_sel:DWORD dst_unused:UNUSED_PAD src0_sel:DWORD src1_sel:WORD_1
	v_fmac_f16_e32 v130, v127, v114
	v_mul_f16_sdwa v127, v127, v114 dst_sel:DWORD dst_unused:UNUSED_PAD src0_sel:DWORD src1_sel:WORD_1
	v_add_f16_e32 v244, v217, v130
	v_fma_f16 v117, v117, v114, -v127
	v_add_f16_e32 v244, v244, v116
	v_add_f16_e32 v127, v128, v117
	;; [unrolled: 1-line block ×3, first 2 shown]
	v_pack_b32_f16 v127, v127, v244
	ds_write2_b32 v154, v119, v127 offset0:12 offset1:255
	v_add_f16_e32 v119, v117, v129
	v_sub_f16_e32 v117, v117, v129
	v_lshrrev_b32_e32 v129, 16, v118
	v_fmac_f16_e32 v128, -0.5, v119
	v_add_f16_e32 v119, v130, v116
	v_sub_f16_e32 v116, v130, v116
	v_fmac_f16_e32 v217, -0.5, v119
	v_fmamk_f16 v119, v116, 0x3aee, v128
	v_fmac_f16_e32 v128, 0xbaee, v116
	v_lshlrev_b32_e32 v116, 3, v216
	v_fmamk_f16 v127, v117, 0xbaee, v217
	v_fmac_f16_e32 v217, 0x3aee, v117
	v_add_co_u32 v116, s0, s18, v116
	v_add_co_ci_u32_e64 v117, null, s19, 0, s0
	v_pack_b32_f16 v119, v119, v127
	v_add_co_u32 v116, vcc_lo, 0x2000, v116
	v_add_co_ci_u32_e32 v117, vcc_lo, 0, v117, vcc_lo
	v_pack_b32_f16 v128, v128, v217
	s_waitcnt lgkmcnt(9)
	v_lshrrev_b32_e32 v217, 16, v120
	global_load_dwordx2 v[116:117], v[116:117], off offset:544
	s_waitcnt vmcnt(0)
	v_mul_f16_sdwa v130, v129, v116 dst_sel:DWORD dst_unused:UNUSED_PAD src0_sel:DWORD src1_sel:WORD_1
	s_waitcnt lgkmcnt(8)
	v_mul_f16_sdwa v216, v125, v117 dst_sel:DWORD dst_unused:UNUSED_PAD src0_sel:DWORD src1_sel:WORD_1
	v_fma_f16 v130, v118, v116, -v130
	v_mul_f16_sdwa v118, v118, v116 dst_sel:DWORD dst_unused:UNUSED_PAD src0_sel:DWORD src1_sel:WORD_1
	v_fmac_f16_e32 v118, v129, v116
	v_lshrrev_b32_e32 v129, 16, v125
	v_add_f16_e32 v245, v217, v118
	v_mul_f16_sdwa v127, v129, v117 dst_sel:DWORD dst_unused:UNUSED_PAD src0_sel:DWORD src1_sel:WORD_1
	v_fmac_f16_e32 v216, v129, v117
	v_fma_f16 v125, v125, v117, -v127
	v_add_f16_e32 v244, v118, v216
	v_sub_f16_e32 v118, v118, v216
	v_add_f16_e32 v127, v130, v125
	v_fmac_f16_e32 v217, -0.5, v244
	v_sub_f16_e32 v129, v130, v125
	v_fma_f16 v127, -0.5, v127, v120
	v_add_f16_e32 v120, v120, v130
	v_fmamk_f16 v246, v129, 0xbaee, v217
	v_fmac_f16_e32 v217, 0x3aee, v129
	v_lshrrev_b32_e32 v129, 16, v121
	v_fmamk_f16 v244, v118, 0x3aee, v127
	v_fmac_f16_e32 v127, 0xbaee, v118
	v_add_f16_e32 v120, v120, v125
	v_add_f16_e32 v125, v245, v216
	v_pack_b32_f16 v244, v244, v246
	v_pack_b32_f16 v118, v127, v217
	v_lshrrev_b32_e32 v127, 16, v126
	v_pack_b32_f16 v120, v120, v125
	s_waitcnt lgkmcnt(7)
	v_lshrrev_b32_e32 v125, 16, v123
	ds_write2_b32 v148, v119, v244 offset0:10 offset1:253
	ds_write2_b32 v171, v128, v118 offset0:5 offset1:248
	v_lshlrev_b32_e32 v118, 3, v215
	v_add_co_u32 v118, s0, s18, v118
	v_add_co_ci_u32_e64 v119, null, s19, 0, s0
	v_add_co_u32 v118, vcc_lo, 0x2000, v118
	v_add_co_ci_u32_e32 v119, vcc_lo, 0, v119, vcc_lo
	global_load_dwordx2 v[118:119], v[118:119], off offset:544
	s_waitcnt vmcnt(0)
	v_mul_f16_sdwa v128, v127, v119 dst_sel:DWORD dst_unused:UNUSED_PAD src0_sel:DWORD src1_sel:WORD_1
	v_fma_f16 v128, v126, v119, -v128
	v_mul_f16_sdwa v126, v126, v119 dst_sel:DWORD dst_unused:UNUSED_PAD src0_sel:DWORD src1_sel:WORD_1
	v_fmac_f16_e32 v126, v127, v119
	v_mul_f16_sdwa v127, v123, v118 dst_sel:DWORD dst_unused:UNUSED_PAD src0_sel:DWORD src1_sel:WORD_1
	v_fmac_f16_e32 v127, v125, v118
	v_mul_f16_sdwa v125, v125, v118 dst_sel:DWORD dst_unused:UNUSED_PAD src0_sel:DWORD src1_sel:WORD_1
	v_add_f16_e32 v130, v129, v127
	v_fma_f16 v123, v123, v118, -v125
	v_add_f16_e32 v130, v130, v126
	v_add_f16_e32 v125, v121, v123
	;; [unrolled: 1-line block ×3, first 2 shown]
	v_pack_b32_f16 v125, v125, v130
	ds_write2_b32 v145, v120, v125 offset0:2 offset1:245
	v_add_f16_e32 v120, v123, v128
	v_sub_f16_e32 v125, v127, v126
	v_fmac_f16_e32 v121, -0.5, v120
	v_add_f16_e32 v120, v127, v126
	v_lshrrev_b32_e32 v127, 16, v124
	v_fmac_f16_e32 v129, -0.5, v120
	v_sub_f16_e32 v120, v123, v128
	v_fmamk_f16 v123, v125, 0x3aee, v121
	v_fmac_f16_e32 v121, 0xbaee, v125
	v_fmamk_f16 v125, v120, 0xbaee, v129
	v_fmac_f16_e32 v129, 0x3aee, v120
	v_lshlrev_b32_e32 v120, 3, v214
	v_lshrrev_b32_e32 v214, 16, v122
	v_pack_b32_f16 v123, v123, v125
	v_pack_b32_f16 v126, v121, v129
	v_add_co_u32 v120, s0, s18, v120
	v_add_co_ci_u32_e64 v121, null, s19, 0, s0
	s_load_dwordx2 s[0:1], s[4:5], 0x38
	v_add_co_u32 v120, vcc_lo, 0x2000, v120
	v_add_co_ci_u32_e32 v121, vcc_lo, 0, v121, vcc_lo
	global_load_dwordx2 v[120:121], v[120:121], off offset:544
	s_waitcnt vmcnt(0)
	v_mul_f16_sdwa v128, v127, v120 dst_sel:DWORD dst_unused:UNUSED_PAD src0_sel:DWORD src1_sel:WORD_1
	v_mul_f16_sdwa v130, v243, v121 dst_sel:DWORD dst_unused:UNUSED_PAD src0_sel:DWORD src1_sel:WORD_1
	v_fma_f16 v128, v124, v120, -v128
	v_mul_f16_sdwa v124, v124, v120 dst_sel:DWORD dst_unused:UNUSED_PAD src0_sel:DWORD src1_sel:WORD_1
	v_add_f16_e32 v215, v122, v128
	v_fmac_f16_e32 v124, v127, v120
	v_lshrrev_b32_e32 v127, 16, v243
	v_mul_f16_sdwa v129, v127, v121 dst_sel:DWORD dst_unused:UNUSED_PAD src0_sel:DWORD src1_sel:WORD_1
	v_fmac_f16_e32 v130, v127, v121
	v_fma_f16 v129, v243, v121, -v129
	v_add_f16_e32 v127, v128, v129
	v_fmac_f16_e32 v122, -0.5, v127
	v_sub_f16_e32 v127, v124, v130
	v_fmamk_f16 v216, v127, 0x3aee, v122
	v_fmac_f16_e32 v122, 0xbaee, v127
	v_add_f16_e32 v127, v124, v130
	v_add_f16_e32 v124, v214, v124
	v_fmac_f16_e32 v214, -0.5, v127
	v_sub_f16_e32 v127, v128, v129
	v_fmamk_f16 v128, v127, 0xbaee, v214
	v_fmac_f16_e32 v214, 0x3aee, v127
	v_pack_b32_f16 v125, v216, v128
	v_pack_b32_f16 v122, v122, v214
	ds_write2_b32 v140, v123, v125 offset1:243
	ds_write2_b32 v174, v126, v122 offset0:11 offset1:254
	v_add_f16_e32 v122, v215, v129
	v_add_f16_e32 v123, v124, v130
	v_pack_b32_f16 v122, v122, v123
	ds_write_b32 v131, v122 offset:7776
	s_waitcnt lgkmcnt(0)
	s_barrier
	buffer_gl0_inv
	global_load_dword v122, v[8:9], off offset:1668
	v_add_co_u32 v8, vcc_lo, 0x8800, v175
	v_add_co_ci_u32_e32 v9, vcc_lo, 0, v176, vcc_lo
	s_clause 0x1
	global_load_dword v124, v[8:9], off offset:176
	global_load_dword v125, v[8:9], off offset:1148
	ds_read2_b32 v[8:9], v131 offset1:243
	s_waitcnt lgkmcnt(0)
	v_lshrrev_b32_e32 v123, 16, v8
	s_waitcnt vmcnt(2)
	v_mul_f16_sdwa v126, v8, v122 dst_sel:DWORD dst_unused:UNUSED_PAD src0_sel:DWORD src1_sel:WORD_1
	v_fmac_f16_e32 v126, v123, v122
	v_mul_f16_sdwa v123, v123, v122 dst_sel:DWORD dst_unused:UNUSED_PAD src0_sel:DWORD src1_sel:WORD_1
	v_fma_f16 v8, v8, v122, -v123
	v_pack_b32_f16 v8, v8, v126
	ds_write_b32 v131, v8
	ds_read2_b32 v[122:123], v173 offset0:8 offset1:251
	s_waitcnt lgkmcnt(0)
	v_lshrrev_b32_e32 v8, 16, v123
	s_waitcnt vmcnt(1)
	v_mul_f16_sdwa v126, v123, v124 dst_sel:DWORD dst_unused:UNUSED_PAD src0_sel:DWORD src1_sel:WORD_1
	v_fmac_f16_e32 v126, v8, v124
	v_mul_f16_sdwa v8, v8, v124 dst_sel:DWORD dst_unused:UNUSED_PAD src0_sel:DWORD src1_sel:WORD_1
	v_fma_f16 v8, v123, v124, -v8
	ds_read2_b32 v[123:124], v166 offset0:6 offset1:249
	v_pack_b32_f16 v8, v8, v126
	s_waitcnt lgkmcnt(0)
	v_lshrrev_b32_e32 v127, 16, v123
	s_waitcnt vmcnt(0)
	v_mul_f16_sdwa v128, v123, v125 dst_sel:DWORD dst_unused:UNUSED_PAD src0_sel:DWORD src1_sel:WORD_1
	v_fmac_f16_e32 v128, v127, v125
	v_mul_f16_sdwa v127, v127, v125 dst_sel:DWORD dst_unused:UNUSED_PAD src0_sel:DWORD src1_sel:WORD_1
	v_fma_f16 v123, v123, v125, -v127
	v_add_nc_u32_e32 v125, 0x2200, v131
	v_pack_b32_f16 v123, v123, v128
	ds_write2_b32 v125, v8, v123 offset0:11 offset1:254
	v_add_co_u32 v125, vcc_lo, 0x6684, v175
	v_add_co_ci_u32_e32 v126, vcc_lo, 0, v176, vcc_lo
	v_lshrrev_b32_e32 v123, 16, v9
	global_load_dword v8, v[125:126], off offset:972
	s_waitcnt vmcnt(0)
	v_mul_f16_sdwa v128, v9, v8 dst_sel:DWORD dst_unused:UNUSED_PAD src0_sel:DWORD src1_sel:WORD_1
	v_mul_f16_sdwa v127, v123, v8 dst_sel:DWORD dst_unused:UNUSED_PAD src0_sel:DWORD src1_sel:WORD_1
	v_fmac_f16_e32 v128, v123, v8
	global_load_dword v123, v[125:126], off offset:1944
	v_fma_f16 v127, v9, v8, -v127
	ds_read2_b32 v[8:9], v160 offset0:6 offset1:249
	s_waitcnt lgkmcnt(0)
	v_lshrrev_b32_e32 v125, 16, v8
	s_waitcnt vmcnt(0)
	v_mul_f16_sdwa v126, v8, v123 dst_sel:DWORD dst_unused:UNUSED_PAD src0_sel:DWORD src1_sel:WORD_1
	v_fmac_f16_e32 v126, v125, v123
	v_mul_f16_sdwa v125, v125, v123 dst_sel:DWORD dst_unused:UNUSED_PAD src0_sel:DWORD src1_sel:WORD_1
	v_fma_f16 v8, v8, v123, -v125
	v_pack_b32_f16 v123, v127, v128
	v_add_nc_u32_e32 v125, 0x3c0, v131
	v_pack_b32_f16 v8, v8, v126
	ds_write2_b32 v125, v123, v8 offset0:3 offset1:246
	v_add_co_u32 v125, vcc_lo, 0x9000, v175
	v_add_co_ci_u32_e32 v126, vcc_lo, 0, v176, vcc_lo
	v_lshrrev_b32_e32 v123, 16, v124
	global_load_dword v8, v[125:126], off offset:72
	s_waitcnt vmcnt(0)
	v_mul_f16_sdwa v127, v123, v8 dst_sel:DWORD dst_unused:UNUSED_PAD src0_sel:DWORD src1_sel:WORD_1
	v_mul_f16_sdwa v128, v124, v8 dst_sel:DWORD dst_unused:UNUSED_PAD src0_sel:DWORD src1_sel:WORD_1
	v_fma_f16 v127, v124, v8, -v127
	v_fmac_f16_e32 v128, v123, v8
	global_load_dword v8, v[125:126], off offset:1044
	ds_read2_b32 v[123:124], v157 offset0:4 offset1:247
	s_waitcnt lgkmcnt(0)
	v_lshrrev_b32_e32 v129, 16, v123
	s_waitcnt vmcnt(0)
	v_mul_f16_sdwa v130, v123, v8 dst_sel:DWORD dst_unused:UNUSED_PAD src0_sel:DWORD src1_sel:WORD_1
	v_fmac_f16_e32 v130, v129, v8
	v_mul_f16_sdwa v129, v129, v8 dst_sel:DWORD dst_unused:UNUSED_PAD src0_sel:DWORD src1_sel:WORD_1
	v_fma_f16 v8, v123, v8, -v129
	v_pack_b32_f16 v123, v127, v128
	v_add_nc_u32_e32 v127, 0x29c0, v131
	v_pack_b32_f16 v8, v8, v130
	ds_write2_b32 v127, v123, v8 offset0:1 offset1:244
	v_add_co_u32 v127, vcc_lo, 0x7000, v175
	v_add_co_ci_u32_e32 v128, vcc_lo, 0, v176, vcc_lo
	v_lshrrev_b32_e32 v123, 16, v9
	global_load_dword v8, v[127:128], off offset:488
	s_waitcnt vmcnt(0)
	v_mul_f16_sdwa v130, v9, v8 dst_sel:DWORD dst_unused:UNUSED_PAD src0_sel:DWORD src1_sel:WORD_1
	v_mul_f16_sdwa v129, v123, v8 dst_sel:DWORD dst_unused:UNUSED_PAD src0_sel:DWORD src1_sel:WORD_1
	v_fmac_f16_e32 v130, v123, v8
	global_load_dword v123, v[127:128], off offset:1460
	v_fma_f16 v129, v9, v8, -v129
	ds_read2_b32 v[8:9], v154 offset0:12 offset1:255
	s_waitcnt lgkmcnt(0)
	v_lshrrev_b32_e32 v127, 16, v8
	s_waitcnt vmcnt(0)
	v_mul_f16_sdwa v128, v8, v123 dst_sel:DWORD dst_unused:UNUSED_PAD src0_sel:DWORD src1_sel:WORD_1
	v_fmac_f16_e32 v128, v127, v123
	v_mul_f16_sdwa v127, v127, v123 dst_sel:DWORD dst_unused:UNUSED_PAD src0_sel:DWORD src1_sel:WORD_1
	v_fma_f16 v8, v8, v123, -v127
	v_pack_b32_f16 v123, v129, v130
	v_add_nc_u32_e32 v127, 0xb40, v131
	v_pack_b32_f16 v8, v8, v128
	ds_write2_b32 v127, v123, v8 offset0:9 offset1:252
	global_load_dword v8, v[125:126], off offset:2016
	v_lshrrev_b32_e32 v123, 16, v124
	s_waitcnt vmcnt(0)
	v_mul_f16_sdwa v128, v124, v8 dst_sel:DWORD dst_unused:UNUSED_PAD src0_sel:DWORD src1_sel:WORD_1
	v_mul_f16_sdwa v125, v123, v8 dst_sel:DWORD dst_unused:UNUSED_PAD src0_sel:DWORD src1_sel:WORD_1
	v_fmac_f16_e32 v128, v123, v8
	v_add_co_u32 v123, vcc_lo, 0x9800, v175
	v_fma_f16 v127, v124, v8, -v125
	v_add_co_ci_u32_e32 v124, vcc_lo, 0, v176, vcc_lo
	ds_read2_b32 v[125:126], v148 offset0:10 offset1:253
	global_load_dword v8, v[123:124], off offset:940
	s_waitcnt lgkmcnt(0)
	v_lshrrev_b32_e32 v129, 16, v125
	s_waitcnt vmcnt(0)
	v_mul_f16_sdwa v130, v125, v8 dst_sel:DWORD dst_unused:UNUSED_PAD src0_sel:DWORD src1_sel:WORD_1
	v_fmac_f16_e32 v130, v129, v8
	v_mul_f16_sdwa v129, v129, v8 dst_sel:DWORD dst_unused:UNUSED_PAD src0_sel:DWORD src1_sel:WORD_1
	v_fma_f16 v8, v125, v8, -v129
	v_pack_b32_f16 v125, v127, v128
	v_add_nc_u32_e32 v127, 0x3140, v131
	v_pack_b32_f16 v8, v8, v130
	ds_write2_b32 v127, v125, v8 offset0:7 offset1:250
	v_add_co_u32 v127, vcc_lo, 0x7800, v175
	v_add_co_ci_u32_e32 v128, vcc_lo, 0, v176, vcc_lo
	v_lshrrev_b32_e32 v125, 16, v9
	global_load_dword v8, v[127:128], off offset:384
	s_waitcnt vmcnt(0)
	v_mul_f16_sdwa v130, v9, v8 dst_sel:DWORD dst_unused:UNUSED_PAD src0_sel:DWORD src1_sel:WORD_1
	v_mul_f16_sdwa v129, v125, v8 dst_sel:DWORD dst_unused:UNUSED_PAD src0_sel:DWORD src1_sel:WORD_1
	v_fmac_f16_e32 v130, v125, v8
	global_load_dword v125, v[127:128], off offset:1356
	v_fma_f16 v129, v9, v8, -v129
	ds_read2_b32 v[8:9], v145 offset0:2 offset1:245
	s_waitcnt lgkmcnt(0)
	v_lshrrev_b32_e32 v127, 16, v8
	s_waitcnt vmcnt(0)
	v_mul_f16_sdwa v128, v8, v125 dst_sel:DWORD dst_unused:UNUSED_PAD src0_sel:DWORD src1_sel:WORD_1
	v_fmac_f16_e32 v128, v127, v125
	v_mul_f16_sdwa v127, v127, v125 dst_sel:DWORD dst_unused:UNUSED_PAD src0_sel:DWORD src1_sel:WORD_1
	v_fma_f16 v8, v8, v125, -v127
	v_pack_b32_f16 v125, v129, v130
	v_add_nc_u32_e32 v127, 0x12e0, v131
	v_pack_b32_f16 v8, v8, v128
	ds_write2_b32 v127, v125, v8 offset0:7 offset1:250
	global_load_dword v8, v[123:124], off offset:1912
	v_lshrrev_b32_e32 v123, 16, v126
	s_waitcnt vmcnt(0)
	v_mul_f16_sdwa v128, v126, v8 dst_sel:DWORD dst_unused:UNUSED_PAD src0_sel:DWORD src1_sel:WORD_1
	v_mul_f16_sdwa v124, v123, v8 dst_sel:DWORD dst_unused:UNUSED_PAD src0_sel:DWORD src1_sel:WORD_1
	v_fmac_f16_e32 v128, v123, v8
	v_add_co_u32 v123, vcc_lo, 0xa000, v175
	v_fma_f16 v127, v126, v8, -v124
	v_add_co_ci_u32_e32 v124, vcc_lo, 0, v176, vcc_lo
	ds_read2_b32 v[125:126], v140 offset1:243
	global_load_dword v8, v[123:124], off offset:836
	s_waitcnt lgkmcnt(0)
	v_lshrrev_b32_e32 v129, 16, v125
	s_waitcnt vmcnt(0)
	v_mul_f16_sdwa v130, v125, v8 dst_sel:DWORD dst_unused:UNUSED_PAD src0_sel:DWORD src1_sel:WORD_1
	v_fmac_f16_e32 v130, v129, v8
	v_mul_f16_sdwa v129, v129, v8 dst_sel:DWORD dst_unused:UNUSED_PAD src0_sel:DWORD src1_sel:WORD_1
	v_fma_f16 v8, v125, v8, -v129
	v_pack_b32_f16 v125, v127, v128
	v_add_nc_u32_e32 v127, 0x38e0, v131
	v_pack_b32_f16 v8, v8, v130
	ds_write2_b32 v127, v125, v8 offset0:5 offset1:248
	v_add_co_u32 v127, vcc_lo, 0x8000, v175
	v_add_co_ci_u32_e32 v128, vcc_lo, 0, v176, vcc_lo
	v_lshrrev_b32_e32 v125, 16, v9
	global_load_dword v8, v[127:128], off offset:280
	s_waitcnt vmcnt(0)
	v_mul_f16_sdwa v129, v125, v8 dst_sel:DWORD dst_unused:UNUSED_PAD src0_sel:DWORD src1_sel:WORD_1
	v_fma_f16 v129, v9, v8, -v129
	v_mul_f16_sdwa v9, v9, v8 dst_sel:DWORD dst_unused:UNUSED_PAD src0_sel:DWORD src1_sel:WORD_1
	v_fmac_f16_e32 v9, v125, v8
	global_load_dword v8, v[127:128], off offset:1252
	v_lshrrev_b32_e32 v125, 16, v122
	s_waitcnt vmcnt(0)
	v_mul_f16_sdwa v127, v125, v8 dst_sel:DWORD dst_unused:UNUSED_PAD src0_sel:DWORD src1_sel:WORD_1
	v_fma_f16 v127, v122, v8, -v127
	v_mul_f16_sdwa v122, v122, v8 dst_sel:DWORD dst_unused:UNUSED_PAD src0_sel:DWORD src1_sel:WORD_1
	v_fmac_f16_e32 v122, v125, v8
	v_pack_b32_f16 v8, v129, v9
	v_pack_b32_f16 v9, v127, v122
	v_add_nc_u32_e32 v122, 0x1a80, v131
	ds_write2_b32 v122, v8, v9 offset0:5 offset1:248
	global_load_dword v8, v[123:124], off offset:1808
	v_lshrrev_b32_e32 v9, 16, v126
	s_waitcnt vmcnt(0)
	v_mul_f16_sdwa v122, v9, v8 dst_sel:DWORD dst_unused:UNUSED_PAD src0_sel:DWORD src1_sel:WORD_1
	v_mul_f16_sdwa v125, v126, v8 dst_sel:DWORD dst_unused:UNUSED_PAD src0_sel:DWORD src1_sel:WORD_1
	v_fma_f16 v124, v126, v8, -v122
	v_fmac_f16_e32 v125, v9, v8
	v_add_co_u32 v8, vcc_lo, 0xa800, v175
	v_add_co_ci_u32_e32 v9, vcc_lo, 0, v176, vcc_lo
	ds_read2_b32 v[122:123], v172 offset0:6 offset1:249
	v_pack_b32_f16 v124, v124, v125
	v_add_nc_u32_e32 v125, 0x4080, v131
	s_clause 0x1
	global_load_dword v126, v[8:9], off offset:732
	global_load_dword v8, v[8:9], off offset:1704
	s_waitcnt lgkmcnt(0)
	v_lshrrev_b32_e32 v127, 16, v122
	v_lshrrev_b32_e32 v9, 16, v123
	s_waitcnt vmcnt(1)
	v_mul_f16_sdwa v128, v122, v126 dst_sel:DWORD dst_unused:UNUSED_PAD src0_sel:DWORD src1_sel:WORD_1
	v_fmac_f16_e32 v128, v127, v126
	v_mul_f16_sdwa v127, v127, v126 dst_sel:DWORD dst_unused:UNUSED_PAD src0_sel:DWORD src1_sel:WORD_1
	v_fma_f16 v122, v122, v126, -v127
	v_pack_b32_f16 v122, v122, v128
	ds_write2_b32 v125, v124, v122 offset0:3 offset1:246
	s_waitcnt vmcnt(0)
	v_mul_f16_sdwa v122, v9, v8 dst_sel:DWORD dst_unused:UNUSED_PAD src0_sel:DWORD src1_sel:WORD_1
	v_mul_f16_sdwa v125, v123, v8 dst_sel:DWORD dst_unused:UNUSED_PAD src0_sel:DWORD src1_sel:WORD_1
	v_fma_f16 v124, v123, v8, -v122
	v_fmac_f16_e32 v125, v9, v8
	v_add_co_u32 v8, vcc_lo, 0xb000, v175
	v_add_co_ci_u32_e32 v9, vcc_lo, 0, v176, vcc_lo
	ds_read2_b32 v[122:123], v162 offset0:12 offset1:255
	v_pack_b32_f16 v124, v124, v125
	s_clause 0x1
	global_load_dword v126, v[8:9], off offset:628
	global_load_dword v8, v[8:9], off offset:1600
	s_waitcnt lgkmcnt(0)
	v_lshrrev_b32_e32 v127, 16, v122
	v_lshrrev_b32_e32 v9, 16, v123
	s_waitcnt vmcnt(1)
	v_mul_f16_sdwa v128, v122, v126 dst_sel:DWORD dst_unused:UNUSED_PAD src0_sel:DWORD src1_sel:WORD_1
	s_waitcnt vmcnt(0)
	v_mul_f16_sdwa v125, v123, v8 dst_sel:DWORD dst_unused:UNUSED_PAD src0_sel:DWORD src1_sel:WORD_1
	v_fmac_f16_e32 v128, v127, v126
	v_mul_f16_sdwa v127, v127, v126 dst_sel:DWORD dst_unused:UNUSED_PAD src0_sel:DWORD src1_sel:WORD_1
	v_fmac_f16_e32 v125, v9, v8
	v_fma_f16 v122, v122, v126, -v127
	v_pack_b32_f16 v122, v122, v128
	ds_write2_b32 v169, v124, v122 offset0:9 offset1:252
	v_mul_f16_sdwa v122, v9, v8 dst_sel:DWORD dst_unused:UNUSED_PAD src0_sel:DWORD src1_sel:WORD_1
	v_fma_f16 v124, v123, v8, -v122
	v_add_co_u32 v8, vcc_lo, 0xb800, v175
	v_add_co_ci_u32_e32 v9, vcc_lo, 0, v176, vcc_lo
	ds_read2_b32 v[122:123], v153 offset0:2 offset1:245
	v_pack_b32_f16 v124, v124, v125
	s_clause 0x1
	global_load_dword v126, v[8:9], off offset:524
	global_load_dword v8, v[8:9], off offset:1496
	s_waitcnt lgkmcnt(0)
	v_lshrrev_b32_e32 v127, 16, v122
	v_lshrrev_b32_e32 v9, 16, v123
	s_waitcnt vmcnt(1)
	v_mul_f16_sdwa v128, v122, v126 dst_sel:DWORD dst_unused:UNUSED_PAD src0_sel:DWORD src1_sel:WORD_1
	v_fmac_f16_e32 v128, v127, v126
	v_mul_f16_sdwa v127, v127, v126 dst_sel:DWORD dst_unused:UNUSED_PAD src0_sel:DWORD src1_sel:WORD_1
	v_fma_f16 v122, v122, v126, -v127
	v_pack_b32_f16 v122, v122, v128
	ds_write2_b32 v170, v124, v122 offset0:7 offset1:250
	s_waitcnt vmcnt(0)
	v_mul_f16_sdwa v122, v9, v8 dst_sel:DWORD dst_unused:UNUSED_PAD src0_sel:DWORD src1_sel:WORD_1
	v_fma_f16 v122, v123, v8, -v122
	v_mul_f16_sdwa v123, v123, v8 dst_sel:DWORD dst_unused:UNUSED_PAD src0_sel:DWORD src1_sel:WORD_1
	v_fmac_f16_e32 v123, v9, v8
	v_add_co_u32 v8, vcc_lo, 0xc000, v175
	v_add_co_ci_u32_e32 v9, vcc_lo, 0, v176, vcc_lo
	s_clause 0x1
	global_load_dword v124, v[8:9], off offset:420
	global_load_dword v125, v[8:9], off offset:1392
	ds_read2_b32 v[8:9], v146 offset0:8 offset1:251
	s_waitcnt lgkmcnt(0)
	v_lshrrev_b32_e32 v126, 16, v8
	s_waitcnt vmcnt(1)
	v_mul_f16_sdwa v127, v8, v124 dst_sel:DWORD dst_unused:UNUSED_PAD src0_sel:DWORD src1_sel:WORD_1
	s_waitcnt vmcnt(0)
	v_mul_f16_sdwa v128, v9, v125 dst_sel:DWORD dst_unused:UNUSED_PAD src0_sel:DWORD src1_sel:WORD_1
	v_fmac_f16_e32 v127, v126, v124
	v_mul_f16_sdwa v126, v126, v124 dst_sel:DWORD dst_unused:UNUSED_PAD src0_sel:DWORD src1_sel:WORD_1
	v_fma_f16 v124, v8, v124, -v126
	v_lshrrev_b32_e32 v8, 16, v9
	v_mul_f16_sdwa v126, v8, v125 dst_sel:DWORD dst_unused:UNUSED_PAD src0_sel:DWORD src1_sel:WORD_1
	v_fmac_f16_e32 v128, v8, v125
	v_add_co_u32 v8, vcc_lo, 0xc800, v175
	v_fma_f16 v126, v9, v125, -v126
	v_add_co_ci_u32_e32 v9, vcc_lo, 0, v176, vcc_lo
	global_load_dword v8, v[8:9], off offset:316
	ds_read_b32 v9, v131 offset:25272
	s_waitcnt lgkmcnt(0)
	v_lshrrev_b32_e32 v125, 16, v9
	s_waitcnt vmcnt(0)
	v_mul_f16_sdwa v129, v125, v8 dst_sel:DWORD dst_unused:UNUSED_PAD src0_sel:DWORD src1_sel:WORD_1
	v_fma_f16 v129, v9, v8, -v129
	v_mul_f16_sdwa v9, v9, v8 dst_sel:DWORD dst_unused:UNUSED_PAD src0_sel:DWORD src1_sel:WORD_1
	v_fmac_f16_e32 v9, v125, v8
	v_pack_b32_f16 v8, v122, v123
	v_pack_b32_f16 v122, v124, v127
	;; [unrolled: 1-line block ×3, first 2 shown]
	ds_write2_b32 v171, v8, v122 offset0:5 offset1:248
	v_pack_b32_f16 v8, v126, v128
	ds_write2_b32 v174, v8, v9 offset0:11 offset1:254
	s_waitcnt lgkmcnt(0)
	s_barrier
	buffer_gl0_inv
	ds_read2_b32 v[8:9], v172 offset0:6 offset1:249
	ds_read2_b32 v[122:123], v173 offset0:8 offset1:251
	ds_read2_b32 v[124:125], v131 offset1:243
	s_waitcnt lgkmcnt(1)
	v_pk_add_f16 v126, v123, v8
	v_pk_add_f16 v127, v123, v8 neg_lo:[0,1] neg_hi:[0,1]
	s_waitcnt lgkmcnt(0)
	v_pk_add_f16 v123, v124, v123
	v_pk_fma_f16 v126, v126, 0.5, v124 op_sel_hi:[1,0,1] neg_lo:[1,0,0] neg_hi:[1,0,0]
	v_pk_mul_f16 v127, 0x3aee, v127 op_sel_hi:[0,1]
	v_pk_add_f16 v8, v123, v8
	v_pk_add_f16 v130, v126, v127 op_sel:[0,1] op_sel_hi:[1,0] neg_lo:[0,1] neg_hi:[0,1]
	v_pk_add_f16 v251, v126, v127 op_sel:[0,1] op_sel_hi:[1,0]
	ds_read_b32 v252, v131 offset:25272
	ds_read2_b32 v[123:124], v166 offset0:6 offset1:249
	ds_read2_b32 v[126:127], v160 offset0:6 offset1:249
	;; [unrolled: 1-line block ×9, first 2 shown]
	ds_read2_b32 v[249:250], v140 offset1:243
	s_waitcnt lgkmcnt(0)
	s_barrier
	buffer_gl0_inv
	v_bfi_b32 v253, 0xffff, v130, v251
	ds_write2_b32 v179, v8, v253 offset1:1
	v_bfi_b32 v8, 0xffff, v251, v130
	ds_write_b32 v179, v8 offset:8
	v_pk_add_f16 v8, v123, v9
	v_pk_fma_f16 v8, v8, 0.5, v125 op_sel_hi:[1,0,1] neg_lo:[1,0,0] neg_hi:[1,0,0]
	v_pk_add_f16 v125, v125, v123
	v_pk_add_f16 v125, v125, v9
	v_pk_add_f16 v9, v123, v9 neg_lo:[0,1] neg_hi:[0,1]
	v_pk_mul_f16 v9, 0x3aee, v9 op_sel_hi:[0,1]
	v_pk_add_f16 v123, v8, v9 op_sel:[0,1] op_sel_hi:[1,0] neg_lo:[0,1] neg_hi:[0,1]
	v_pk_add_f16 v8, v8, v9 op_sel:[0,1] op_sel_hi:[1,0]
	v_bfi_b32 v9, 0xffff, v123, v8
	v_bfi_b32 v8, 0xffff, v8, v123
	v_pk_add_f16 v123, v126, v124
	ds_write2_b32 v183, v125, v9 offset1:1
	ds_write_b32 v183, v8 offset:8
	v_pk_add_f16 v8, v124, v128
	v_pk_add_f16 v9, v124, v128 neg_lo:[0,1] neg_hi:[0,1]
	v_pk_fma_f16 v8, v8, 0.5, v126 op_sel_hi:[1,0,1] neg_lo:[1,0,0] neg_hi:[1,0,0]
	v_pk_mul_f16 v9, 0x3aee, v9 op_sel_hi:[0,1]
	v_pk_add_f16 v124, v8, v9 op_sel:[0,1] op_sel_hi:[1,0] neg_lo:[0,1] neg_hi:[0,1]
	v_pk_add_f16 v8, v8, v9 op_sel:[0,1] op_sel_hi:[1,0]
	v_pk_add_f16 v9, v123, v128
	v_bfi_b32 v123, 0xffff, v124, v8
	v_bfi_b32 v8, 0xffff, v8, v124
	ds_write2_b32 v182, v9, v123 offset1:1
	ds_write_b32 v182, v8 offset:8
	v_pk_add_f16 v8, v175, v129
	v_pk_add_f16 v123, v175, v129 neg_lo:[0,1] neg_hi:[0,1]
	v_pk_add_f16 v9, v127, v175
	v_pk_fma_f16 v8, v8, 0.5, v127 op_sel_hi:[1,0,1] neg_lo:[1,0,0] neg_hi:[1,0,0]
	v_pk_mul_f16 v123, 0x3aee, v123 op_sel_hi:[0,1]
	v_pk_add_f16 v9, v9, v129
	v_pk_add_f16 v124, v8, v123 op_sel:[0,1] op_sel_hi:[1,0] neg_lo:[0,1] neg_hi:[0,1]
	v_pk_add_f16 v8, v8, v123 op_sel:[0,1] op_sel_hi:[1,0]
	v_bfi_b32 v123, 0xffff, v124, v8
	v_bfi_b32 v8, 0xffff, v8, v124
	ds_write2_b32 v181, v9, v123 offset1:1
	ds_write_b32 v181, v8 offset:8
	v_pk_add_f16 v8, v176, v216
	v_pk_add_f16 v9, v176, v216 neg_lo:[0,1] neg_hi:[0,1]
	v_pk_add_f16 v123, v214, v176
	v_pk_fma_f16 v8, v8, 0.5, v214 op_sel_hi:[1,0,1] neg_lo:[1,0,0] neg_hi:[1,0,0]
	v_pk_mul_f16 v9, 0x3aee, v9 op_sel_hi:[0,1]
	v_pk_add_f16 v124, v8, v9 op_sel:[0,1] op_sel_hi:[1,0] neg_lo:[0,1] neg_hi:[0,1]
	v_pk_add_f16 v8, v8, v9 op_sel:[0,1] op_sel_hi:[1,0]
	v_pk_add_f16 v9, v123, v216
	v_bfi_b32 v123, 0xffff, v124, v8
	v_bfi_b32 v8, 0xffff, v8, v124
	ds_write2_b32 v180, v9, v123 offset1:1
	ds_write_b32 v180, v8 offset:8
	v_pk_add_f16 v8, v243, v217
	v_pk_add_f16 v123, v243, v217 neg_lo:[0,1] neg_hi:[0,1]
	v_pk_add_f16 v9, v215, v243
	v_pk_fma_f16 v8, v8, 0.5, v215 op_sel_hi:[1,0,1] neg_lo:[1,0,0] neg_hi:[1,0,0]
	v_pk_mul_f16 v123, 0x3aee, v123 op_sel_hi:[0,1]
	v_pk_add_f16 v9, v9, v217
	v_pk_add_f16 v124, v8, v123 op_sel:[0,1] op_sel_hi:[1,0] neg_lo:[0,1] neg_hi:[0,1]
	v_pk_add_f16 v8, v8, v123 op_sel:[0,1] op_sel_hi:[1,0]
	v_bfi_b32 v123, 0xffff, v124, v8
	v_bfi_b32 v8, 0xffff, v8, v124
	ds_write2_b32 v178, v9, v123 offset1:1
	ds_write_b32 v178, v8 offset:8
	v_pk_add_f16 v8, v244, v247
	v_pk_add_f16 v9, v244, v247 neg_lo:[0,1] neg_hi:[0,1]
	v_pk_add_f16 v123, v245, v244
	v_pk_fma_f16 v8, v8, 0.5, v245 op_sel_hi:[1,0,1] neg_lo:[1,0,0] neg_hi:[1,0,0]
	v_pk_mul_f16 v9, 0x3aee, v9 op_sel_hi:[0,1]
	v_pk_add_f16 v124, v8, v9 op_sel:[0,1] op_sel_hi:[1,0] neg_lo:[0,1] neg_hi:[0,1]
	v_pk_add_f16 v8, v8, v9 op_sel:[0,1] op_sel_hi:[1,0]
	v_pk_add_f16 v9, v123, v247
	v_bfi_b32 v123, 0xffff, v124, v8
	v_bfi_b32 v8, 0xffff, v8, v124
	ds_write2_b32 v184, v9, v123 offset1:1
	ds_write_b32 v184, v8 offset:8
	v_pk_add_f16 v8, v249, v248
	v_pk_add_f16 v123, v249, v248 neg_lo:[0,1] neg_hi:[0,1]
	v_pk_add_f16 v9, v246, v249
	v_pk_fma_f16 v8, v8, 0.5, v246 op_sel_hi:[1,0,1] neg_lo:[1,0,0] neg_hi:[1,0,0]
	v_pk_mul_f16 v123, 0x3aee, v123 op_sel_hi:[0,1]
	v_pk_add_f16 v9, v9, v248
	v_pk_add_f16 v124, v8, v123 op_sel:[0,1] op_sel_hi:[1,0] neg_lo:[0,1] neg_hi:[0,1]
	v_pk_add_f16 v8, v8, v123 op_sel:[0,1] op_sel_hi:[1,0]
	v_bfi_b32 v123, 0xffff, v124, v8
	v_bfi_b32 v8, 0xffff, v8, v124
	ds_write2_b32 v185, v9, v123 offset1:1
	ds_write_b32 v185, v8 offset:8
	v_pk_add_f16 v8, v250, v252
	v_pk_add_f16 v9, v122, v250
	v_pk_fma_f16 v8, v8, 0.5, v122 op_sel_hi:[1,0,1] neg_lo:[1,0,0] neg_hi:[1,0,0]
	v_pk_add_f16 v122, v250, v252 neg_lo:[0,1] neg_hi:[0,1]
	v_pk_add_f16 v9, v9, v252
	v_pk_mul_f16 v122, 0x3aee, v122 op_sel_hi:[0,1]
	v_pk_add_f16 v123, v8, v122 op_sel:[0,1] op_sel_hi:[1,0] neg_lo:[0,1] neg_hi:[0,1]
	v_pk_add_f16 v8, v8, v122 op_sel:[0,1] op_sel_hi:[1,0]
	v_bfi_b32 v122, 0xffff, v123, v8
	v_bfi_b32 v8, 0xffff, v8, v123
	ds_write2_b32 v186, v9, v122 offset1:1
	ds_write_b32 v186, v8 offset:8
	s_waitcnt lgkmcnt(0)
	s_barrier
	buffer_gl0_inv
	ds_read_b32 v8, v131 offset:25272
	s_waitcnt lgkmcnt(0)
	v_lshrrev_b32_e32 v9, 16, v8
	v_mul_f16_sdwa v122, v25, v9 dst_sel:DWORD dst_unused:UNUSED_PAD src0_sel:WORD_1 src1_sel:DWORD
	v_fmac_f16_e32 v122, v25, v8
	v_mul_f16_sdwa v8, v25, v8 dst_sel:DWORD dst_unused:UNUSED_PAD src0_sel:WORD_1 src1_sel:DWORD
	v_fma_f16 v25, v25, v9, -v8
	ds_read2_b32 v[8:9], v140 offset1:243
	s_waitcnt lgkmcnt(0)
	v_lshrrev_b32_e32 v123, 16, v9
	v_mul_f16_sdwa v124, v24, v9 dst_sel:DWORD dst_unused:UNUSED_PAD src0_sel:WORD_1 src1_sel:DWORD
	v_fma_f16 v124, v24, v123, -v124
	v_mul_f16_sdwa v123, v24, v123 dst_sel:DWORD dst_unused:UNUSED_PAD src0_sel:WORD_1 src1_sel:DWORD
	v_fmac_f16_e32 v123, v24, v9
	v_lshrrev_b32_e32 v9, 16, v8
	v_mul_f16_sdwa v24, v22, v9 dst_sel:DWORD dst_unused:UNUSED_PAD src0_sel:WORD_1 src1_sel:DWORD
	v_fmac_f16_e32 v24, v22, v8
	v_mul_f16_sdwa v8, v22, v8 dst_sel:DWORD dst_unused:UNUSED_PAD src0_sel:WORD_1 src1_sel:DWORD
	v_fma_f16 v22, v22, v9, -v8
	ds_read2_b32 v[8:9], v146 offset0:8 offset1:251
	s_waitcnt lgkmcnt(0)
	v_lshrrev_b32_e32 v125, 16, v9
	v_mul_f16_sdwa v126, v23, v9 dst_sel:DWORD dst_unused:UNUSED_PAD src0_sel:WORD_1 src1_sel:DWORD
	v_fma_f16 v126, v23, v125, -v126
	v_mul_f16_sdwa v125, v23, v125 dst_sel:DWORD dst_unused:UNUSED_PAD src0_sel:WORD_1 src1_sel:DWORD
	v_fmac_f16_e32 v125, v23, v9
	v_lshrrev_b32_e32 v9, 16, v8
	v_mul_f16_sdwa v23, v21, v9 dst_sel:DWORD dst_unused:UNUSED_PAD src0_sel:WORD_1 src1_sel:DWORD
	v_fmac_f16_e32 v23, v21, v8
	v_mul_f16_sdwa v8, v21, v8 dst_sel:DWORD dst_unused:UNUSED_PAD src0_sel:WORD_1 src1_sel:DWORD
	v_fma_f16 v21, v21, v9, -v8
	ds_read2_b32 v[8:9], v148 offset0:10 offset1:253
	;; [unrolled: 12-line block ×5, first 2 shown]
	s_waitcnt lgkmcnt(0)
	v_lshrrev_b32_e32 v14, 16, v9
	v_mul_f16_sdwa v179, v15, v9 dst_sel:DWORD dst_unused:UNUSED_PAD src0_sel:WORD_1 src1_sel:DWORD
	v_mul_f16_sdwa v180, v15, v14 dst_sel:DWORD dst_unused:UNUSED_PAD src0_sel:WORD_1 src1_sel:DWORD
	v_fma_f16 v179, v15, v14, -v179
	v_fmac_f16_e32 v180, v15, v9
	v_lshrrev_b32_e32 v9, 16, v8
	v_mul_f16_sdwa v181, v13, v9 dst_sel:DWORD dst_unused:UNUSED_PAD src0_sel:WORD_1 src1_sel:DWORD
	v_fmac_f16_e32 v181, v13, v8
	v_mul_f16_sdwa v8, v13, v8 dst_sel:DWORD dst_unused:UNUSED_PAD src0_sel:WORD_1 src1_sel:DWORD
	v_fma_f16 v182, v13, v9, -v8
	ds_read2_b32 v[8:9], v166 offset0:6 offset1:249
	s_waitcnt lgkmcnt(0)
	v_lshrrev_b32_e32 v13, 16, v9
	v_mul_f16_sdwa v14, v12, v9 dst_sel:DWORD dst_unused:UNUSED_PAD src0_sel:WORD_1 src1_sel:DWORD
	v_mul_f16_sdwa v184, v12, v13 dst_sel:DWORD dst_unused:UNUSED_PAD src0_sel:WORD_1 src1_sel:DWORD
	v_fma_f16 v183, v12, v13, -v14
	v_fmac_f16_e32 v184, v12, v9
	v_lshrrev_b32_e32 v9, 16, v8
	v_mul_f16_sdwa v185, v4, v9 dst_sel:DWORD dst_unused:UNUSED_PAD src0_sel:WORD_1 src1_sel:DWORD
	v_fmac_f16_e32 v185, v4, v8
	v_mul_f16_sdwa v8, v4, v8 dst_sel:DWORD dst_unused:UNUSED_PAD src0_sel:WORD_1 src1_sel:DWORD
	v_fma_f16 v186, v4, v9, -v8
	ds_read2_b32 v[8:9], v172 offset0:6 offset1:249
	s_waitcnt lgkmcnt(0)
	v_lshrrev_b32_e32 v4, 16, v9
	v_mul_f16_sdwa v12, v5, v9 dst_sel:DWORD dst_unused:UNUSED_PAD src0_sel:WORD_1 src1_sel:DWORD
	v_mul_f16_sdwa v215, v5, v4 dst_sel:DWORD dst_unused:UNUSED_PAD src0_sel:WORD_1 src1_sel:DWORD
	v_fma_f16 v214, v5, v4, -v12
	v_lshrrev_b32_e32 v4, 16, v8
	v_fmac_f16_e32 v215, v5, v9
	v_mul_f16_sdwa v5, v3, v8 dst_sel:DWORD dst_unused:UNUSED_PAD src0_sel:WORD_1 src1_sel:DWORD
	v_mul_f16_sdwa v9, v3, v4 dst_sel:DWORD dst_unused:UNUSED_PAD src0_sel:WORD_1 src1_sel:DWORD
	v_fmac_f16_e32 v9, v3, v8
	v_fma_f16 v8, v3, v4, -v5
	ds_read2_b32 v[3:4], v173 offset0:8 offset1:251
	s_waitcnt lgkmcnt(0)
	v_lshrrev_b32_e32 v5, 16, v4
	v_mul_f16_sdwa v12, v2, v4 dst_sel:DWORD dst_unused:UNUSED_PAD src0_sel:WORD_1 src1_sel:DWORD
	v_mul_f16_sdwa v13, v2, v5 dst_sel:DWORD dst_unused:UNUSED_PAD src0_sel:WORD_1 src1_sel:DWORD
	v_fma_f16 v12, v2, v5, -v12
	v_fmac_f16_e32 v13, v2, v4
	ds_read2_b32 v[4:5], v131 offset1:243
	v_add_f16_e32 v15, v12, v8
	v_sub_f16_e32 v216, v12, v8
	v_sub_f16_e32 v217, v13, v9
	s_waitcnt lgkmcnt(0)
	v_lshrrev_b32_e32 v2, 16, v4
	v_add_f16_e32 v14, v2, v12
	v_add_f16_e32 v12, v4, v13
	v_fmac_f16_e32 v2, -0.5, v15
	v_add_f16_e32 v8, v14, v8
	v_add_f16_e32 v14, v13, v9
	;; [unrolled: 1-line block ×3, first 2 shown]
	v_fmamk_f16 v9, v217, 0x3aee, v2
	v_fmac_f16_e32 v2, 0xbaee, v217
	v_fma_f16 v4, -0.5, v14, v4
	v_pack_b32_f16 v243, v12, v8
	v_fmamk_f16 v8, v216, 0xbaee, v4
	v_fmac_f16_e32 v4, 0x3aee, v216
	v_pack_b32_f16 v244, v8, v9
	v_pack_b32_f16 v2, v4, v2
	ds_read2_b32 v[8:9], v160 offset0:6 offset1:249
	ds_read2_b32 v[12:13], v154 offset0:12 offset1:255
	;; [unrolled: 1-line block ×3, first 2 shown]
	s_waitcnt lgkmcnt(0)
	s_barrier
	buffer_gl0_inv
	ds_write_b32 v177, v2 offset:24
	v_add_f16_e32 v2, v185, v215
	ds_write2_b32 v177, v243, v244 offset1:3
	v_lshrrev_b32_e32 v4, 16, v5
	v_add_f16_e32 v177, v5, v185
	v_fmac_f16_e32 v5, -0.5, v2
	v_sub_f16_e32 v2, v186, v214
	v_fmamk_f16 v216, v2, 0xbaee, v5
	v_fmac_f16_e32 v5, 0x3aee, v2
	v_add_f16_e32 v2, v186, v214
	v_add_f16_e32 v186, v4, v186
	v_fmac_f16_e32 v4, -0.5, v2
	v_sub_f16_e32 v2, v185, v215
	v_fmamk_f16 v185, v2, 0x3aee, v4
	v_fmac_f16_e32 v4, 0xbaee, v2
	v_pack_b32_f16 v2, v5, v4
	v_add_f16_e32 v4, v177, v215
	v_add_f16_e32 v5, v186, v214
	v_sub_f16_e32 v177, v183, v182
	v_pack_b32_f16 v4, v4, v5
	v_pack_b32_f16 v5, v216, v185
	ds_write2_b32 v188, v4, v5 offset1:3
	ds_write_b32 v188, v2 offset:24
	v_lshrrev_b32_e32 v2, 16, v8
	v_add_f16_e32 v5, v183, v182
	v_add_f16_e32 v4, v2, v183
	v_fmac_f16_e32 v2, -0.5, v5
	v_add_f16_e32 v5, v8, v184
	v_add_f16_e32 v4, v4, v182
	;; [unrolled: 1-line block ×4, first 2 shown]
	v_sub_f16_e32 v181, v184, v181
	v_pack_b32_f16 v4, v5, v4
	v_fma_f16 v5, -0.5, v182, v8
	v_fmamk_f16 v182, v181, 0x3aee, v2
	v_fmac_f16_e32 v2, 0xbaee, v181
	v_fmamk_f16 v8, v177, 0xbaee, v5
	v_fmac_f16_e32 v5, 0x3aee, v177
	v_pack_b32_f16 v8, v8, v182
	v_pack_b32_f16 v2, v5, v2
	v_add_f16_e32 v5, v9, v16
	ds_write2_b32 v190, v4, v8 offset1:3
	ds_write_b32 v190, v2 offset:24
	v_add_f16_e32 v2, v16, v180
	v_lshrrev_b32_e32 v4, 16, v9
	v_fmac_f16_e32 v9, -0.5, v2
	v_sub_f16_e32 v2, v178, v179
	v_add_f16_e32 v177, v4, v178
	v_fmamk_f16 v8, v2, 0xbaee, v9
	v_fmac_f16_e32 v9, 0x3aee, v2
	v_add_f16_e32 v2, v178, v179
	v_fmac_f16_e32 v4, -0.5, v2
	v_sub_f16_e32 v2, v16, v180
	v_fmamk_f16 v16, v2, 0x3aee, v4
	v_fmac_f16_e32 v4, 0xbaee, v2
	v_pack_b32_f16 v2, v9, v4
	v_add_f16_e32 v4, v5, v180
	v_add_f16_e32 v5, v177, v179
	;; [unrolled: 1-line block ×3, first 2 shown]
	v_pack_b32_f16 v4, v4, v5
	v_pack_b32_f16 v5, v8, v16
	ds_write2_b32 v189, v4, v5 offset1:3
	ds_write_b32 v189, v2 offset:24
	v_lshrrev_b32_e32 v2, 16, v12
	v_add_f16_e32 v5, v176, v17
	v_sub_f16_e32 v8, v176, v17
	v_sub_f16_e32 v16, v175, v19
	v_add_f16_e32 v4, v2, v176
	v_fmac_f16_e32 v2, -0.5, v5
	v_add_f16_e32 v5, v12, v175
	v_add_f16_e32 v4, v4, v17
	;; [unrolled: 1-line block ×3, first 2 shown]
	v_pack_b32_f16 v4, v5, v4
	v_fma_f16 v5, -0.5, v9, v12
	v_fmamk_f16 v12, v16, 0x3aee, v2
	v_fmac_f16_e32 v2, 0xbaee, v16
	v_fmamk_f16 v9, v8, 0xbaee, v5
	v_fmac_f16_e32 v5, 0x3aee, v8
	v_pack_b32_f16 v9, v9, v12
	v_pack_b32_f16 v2, v5, v2
	v_add_f16_e32 v5, v13, v20
	ds_write2_b32 v191, v4, v9 offset1:3
	ds_write_b32 v191, v2 offset:24
	v_add_f16_e32 v2, v20, v129
	v_lshrrev_b32_e32 v4, 16, v13
	v_fmac_f16_e32 v13, -0.5, v2
	v_sub_f16_e32 v2, v18, v130
	v_add_f16_e32 v9, v4, v18
	v_fmamk_f16 v8, v2, 0xbaee, v13
	v_fmac_f16_e32 v13, 0x3aee, v2
	v_add_f16_e32 v2, v18, v130
	v_fmac_f16_e32 v4, -0.5, v2
	v_sub_f16_e32 v2, v20, v129
	v_fmamk_f16 v12, v2, 0x3aee, v4
	v_fmac_f16_e32 v4, 0xbaee, v2
	v_pack_b32_f16 v2, v13, v4
	v_add_f16_e32 v4, v5, v129
	v_add_f16_e32 v5, v9, v130
	;; [unrolled: 1-line block ×3, first 2 shown]
	v_pack_b32_f16 v4, v4, v5
	v_pack_b32_f16 v5, v8, v12
	ds_write2_b32 v192, v4, v5 offset1:3
	ds_write_b32 v192, v2 offset:24
	v_lshrrev_b32_e32 v2, 16, v14
	v_add_f16_e32 v5, v128, v21
	v_sub_f16_e32 v8, v128, v21
	v_sub_f16_e32 v12, v127, v23
	v_add_f16_e32 v4, v2, v128
	v_fmac_f16_e32 v2, -0.5, v5
	v_add_f16_e32 v5, v14, v127
	v_add_f16_e32 v4, v4, v21
	v_fmamk_f16 v13, v12, 0x3aee, v2
	v_add_f16_e32 v5, v5, v23
	v_fmac_f16_e32 v2, 0xbaee, v12
	v_pack_b32_f16 v4, v5, v4
	v_fma_f16 v5, -0.5, v9, v14
	v_fmamk_f16 v9, v8, 0xbaee, v5
	v_fmac_f16_e32 v5, 0x3aee, v8
	v_pack_b32_f16 v9, v9, v13
	v_pack_b32_f16 v2, v5, v2
	v_add_f16_e32 v5, v15, v24
	ds_write2_b32 v193, v4, v9 offset1:3
	ds_write_b32 v193, v2 offset:24
	v_add_f16_e32 v2, v24, v125
	v_lshrrev_b32_e32 v4, 16, v15
	v_fmac_f16_e32 v15, -0.5, v2
	v_sub_f16_e32 v2, v22, v126
	v_add_f16_e32 v9, v4, v22
	v_fmamk_f16 v8, v2, 0xbaee, v15
	v_fmac_f16_e32 v15, 0x3aee, v2
	v_add_f16_e32 v2, v22, v126
	v_fmac_f16_e32 v4, -0.5, v2
	v_sub_f16_e32 v2, v24, v125
	v_fmamk_f16 v12, v2, 0x3aee, v4
	v_fmac_f16_e32 v4, 0xbaee, v2
	v_pack_b32_f16 v2, v15, v4
	v_add_f16_e32 v4, v5, v125
	v_add_f16_e32 v5, v9, v126
	v_pack_b32_f16 v4, v4, v5
	v_pack_b32_f16 v5, v8, v12
	ds_write2_b32 v194, v4, v5 offset1:3
	ds_write_b32 v194, v2 offset:24
	v_add_f16_e32 v2, v123, v122
	v_lshrrev_b32_e32 v4, 16, v3
	v_add_f16_e32 v5, v3, v123
	v_fmac_f16_e32 v3, -0.5, v2
	v_sub_f16_e32 v2, v124, v25
	v_add_f16_e32 v9, v4, v124
	v_fmamk_f16 v8, v2, 0xbaee, v3
	v_fmac_f16_e32 v3, 0x3aee, v2
	v_add_f16_e32 v2, v124, v25
	v_fmac_f16_e32 v4, -0.5, v2
	v_sub_f16_e32 v2, v123, v122
	v_fmamk_f16 v12, v2, 0x3aee, v4
	v_fmac_f16_e32 v4, 0xbaee, v2
	v_pack_b32_f16 v2, v3, v4
	v_add_f16_e32 v3, v5, v122
	v_add_f16_e32 v4, v9, v25
	v_pack_b32_f16 v3, v3, v4
	v_pack_b32_f16 v4, v8, v12
	ds_write2_b32 v195, v3, v4 offset1:3
	ds_write_b32 v195, v2 offset:24
	s_waitcnt lgkmcnt(0)
	s_barrier
	buffer_gl0_inv
	ds_read_b32 v2, v131 offset:25272
	s_waitcnt lgkmcnt(0)
	v_lshrrev_b32_e32 v3, 16, v2
	v_mul_f16_sdwa v12, v39, v3 dst_sel:DWORD dst_unused:UNUSED_PAD src0_sel:WORD_1 src1_sel:DWORD
	v_fmac_f16_e32 v12, v39, v2
	v_mul_f16_sdwa v2, v39, v2 dst_sel:DWORD dst_unused:UNUSED_PAD src0_sel:WORD_1 src1_sel:DWORD
	v_fma_f16 v13, v39, v3, -v2
	ds_read2_b32 v[2:3], v140 offset1:243
	s_waitcnt lgkmcnt(0)
	v_lshrrev_b32_e32 v4, 16, v3
	v_mul_f16_sdwa v5, v38, v3 dst_sel:DWORD dst_unused:UNUSED_PAD src0_sel:WORD_1 src1_sel:DWORD
	v_mul_f16_sdwa v15, v38, v4 dst_sel:DWORD dst_unused:UNUSED_PAD src0_sel:WORD_1 src1_sel:DWORD
	v_fma_f16 v14, v38, v4, -v5
	v_fmac_f16_e32 v15, v38, v3
	v_lshrrev_b32_e32 v3, 16, v2
	v_mul_f16_sdwa v16, v36, v3 dst_sel:DWORD dst_unused:UNUSED_PAD src0_sel:WORD_1 src1_sel:DWORD
	v_fmac_f16_e32 v16, v36, v2
	v_mul_f16_sdwa v2, v36, v2 dst_sel:DWORD dst_unused:UNUSED_PAD src0_sel:WORD_1 src1_sel:DWORD
	v_fma_f16 v17, v36, v3, -v2
	ds_read2_b32 v[2:3], v146 offset0:8 offset1:251
	s_waitcnt lgkmcnt(0)
	v_lshrrev_b32_e32 v4, 16, v3
	v_mul_f16_sdwa v5, v37, v3 dst_sel:DWORD dst_unused:UNUSED_PAD src0_sel:WORD_1 src1_sel:DWORD
	v_mul_f16_sdwa v19, v37, v4 dst_sel:DWORD dst_unused:UNUSED_PAD src0_sel:WORD_1 src1_sel:DWORD
	v_fma_f16 v18, v37, v4, -v5
	v_fmac_f16_e32 v19, v37, v3
	v_lshrrev_b32_e32 v3, 16, v2
	v_mul_f16_sdwa v20, v35, v3 dst_sel:DWORD dst_unused:UNUSED_PAD src0_sel:WORD_1 src1_sel:DWORD
	v_fmac_f16_e32 v20, v35, v2
	v_mul_f16_sdwa v2, v35, v2 dst_sel:DWORD dst_unused:UNUSED_PAD src0_sel:WORD_1 src1_sel:DWORD
	v_fma_f16 v21, v35, v3, -v2
	ds_read2_b32 v[2:3], v148 offset0:10 offset1:253
	;; [unrolled: 12-line block ×8, first 2 shown]
	s_waitcnt lgkmcnt(0)
	v_lshrrev_b32_e32 v4, 16, v3
	v_mul_f16_sdwa v8, v6, v3 dst_sel:DWORD dst_unused:UNUSED_PAD src0_sel:WORD_1 src1_sel:DWORD
	v_mul_f16_sdwa v9, v6, v4 dst_sel:DWORD dst_unused:UNUSED_PAD src0_sel:WORD_1 src1_sel:DWORD
	v_fma_f16 v8, v6, v4, -v8
	v_fmac_f16_e32 v9, v6, v3
	ds_read2_b32 v[3:4], v131 offset1:243
	v_add_f16_e32 v10, v8, v7
	v_sub_f16_e32 v126, v8, v7
	v_sub_f16_e32 v127, v9, v5
	s_waitcnt lgkmcnt(0)
	v_lshrrev_b32_e32 v11, 16, v3
	v_add_f16_e32 v6, v11, v8
	v_add_f16_e32 v8, v9, v5
	v_fmac_f16_e32 v11, -0.5, v10
	v_add_f16_e32 v6, v6, v7
	v_add_f16_e32 v7, v3, v9
	v_fma_f16 v3, -0.5, v8, v3
	v_add_f16_e32 v7, v7, v5
	v_fmamk_f16 v5, v126, 0xbaee, v3
	v_fmac_f16_e32 v3, 0x3aee, v126
	v_add_f16_e32 v126, v4, v26
	v_pack_b32_f16 v128, v7, v6
	v_fmamk_f16 v6, v127, 0x3aee, v11
	v_fmac_f16_e32 v11, 0xbaee, v127
	v_pack_b32_f16 v129, v5, v6
	v_pack_b32_f16 v3, v3, v11
	ds_read2_b32 v[5:6], v160 offset0:6 offset1:249
	ds_read2_b32 v[7:8], v154 offset0:12 offset1:255
	;; [unrolled: 1-line block ×3, first 2 shown]
	s_waitcnt lgkmcnt(0)
	s_barrier
	buffer_gl0_inv
	ds_write_b32 v187, v3 offset:72
	v_add_f16_e32 v3, v26, v125
	v_lshrrev_b32_e32 v11, 16, v4
	ds_write2_b32 v187, v128, v129 offset1:9
	v_fmac_f16_e32 v4, -0.5, v3
	v_sub_f16_e32 v3, v123, v124
	v_fmamk_f16 v127, v3, 0xbaee, v4
	v_fmac_f16_e32 v4, 0x3aee, v3
	v_add_f16_e32 v3, v123, v124
	v_add_f16_e32 v123, v11, v123
	v_fmac_f16_e32 v11, -0.5, v3
	v_sub_f16_e32 v3, v26, v125
	v_fmamk_f16 v26, v3, 0x3aee, v11
	v_fmac_f16_e32 v11, 0xbaee, v3
	v_pack_b32_f16 v3, v4, v11
	v_add_f16_e32 v4, v126, v125
	v_add_f16_e32 v11, v123, v124
	v_pack_b32_f16 v4, v4, v11
	v_pack_b32_f16 v11, v127, v26
	ds_write2_b32 v196, v4, v11 offset1:9
	ds_write_b32 v196, v3 offset:72
	v_lshrrev_b32_e32 v3, 16, v5
	v_add_f16_e32 v11, v39, v27
	v_sub_f16_e32 v26, v39, v27
	v_add_f16_e32 v4, v3, v39
	v_fmac_f16_e32 v3, -0.5, v11
	v_add_f16_e32 v11, v5, v122
	v_add_f16_e32 v4, v4, v27
	;; [unrolled: 1-line block ×4, first 2 shown]
	v_sub_f16_e32 v29, v122, v29
	v_fma_f16 v5, -0.5, v27, v5
	v_pack_b32_f16 v4, v11, v4
	v_fmamk_f16 v27, v29, 0x3aee, v3
	v_fmac_f16_e32 v3, 0xbaee, v29
	v_fmamk_f16 v11, v26, 0xbaee, v5
	v_fmac_f16_e32 v5, 0x3aee, v26
	v_pack_b32_f16 v11, v11, v27
	v_pack_b32_f16 v3, v5, v3
	v_add_f16_e32 v5, v6, v30
	ds_write2_b32 v199, v4, v11 offset1:9
	ds_write_b32 v199, v3 offset:72
	v_add_f16_e32 v3, v30, v38
	v_lshrrev_b32_e32 v4, 16, v6
	v_fmac_f16_e32 v6, -0.5, v3
	v_sub_f16_e32 v3, v28, v37
	v_add_f16_e32 v26, v4, v28
	v_fmamk_f16 v11, v3, 0xbaee, v6
	v_fmac_f16_e32 v6, 0x3aee, v3
	v_add_f16_e32 v3, v28, v37
	v_fmac_f16_e32 v4, -0.5, v3
	v_sub_f16_e32 v3, v30, v38
	v_fmamk_f16 v27, v3, 0x3aee, v4
	v_fmac_f16_e32 v4, 0xbaee, v3
	v_pack_b32_f16 v3, v6, v4
	v_add_f16_e32 v4, v5, v38
	v_add_f16_e32 v5, v26, v37
	v_sub_f16_e32 v6, v35, v31
	v_sub_f16_e32 v26, v36, v33
	v_pack_b32_f16 v4, v4, v5
	v_pack_b32_f16 v5, v11, v27
	ds_write2_b32 v197, v4, v5 offset1:9
	ds_write_b32 v197, v3 offset:72
	v_lshrrev_b32_e32 v3, 16, v7
	v_add_f16_e32 v5, v35, v31
	v_add_f16_e32 v11, v36, v33
	;; [unrolled: 1-line block ×3, first 2 shown]
	v_fmac_f16_e32 v3, -0.5, v5
	v_add_f16_e32 v5, v7, v36
	v_add_f16_e32 v4, v4, v31
	;; [unrolled: 1-line block ×3, first 2 shown]
	v_pack_b32_f16 v4, v5, v4
	v_fma_f16 v5, -0.5, v11, v7
	v_fmamk_f16 v11, v26, 0x3aee, v3
	v_fmac_f16_e32 v3, 0xbaee, v26
	v_fmamk_f16 v7, v6, 0xbaee, v5
	v_fmac_f16_e32 v5, 0x3aee, v6
	v_pack_b32_f16 v7, v7, v11
	v_pack_b32_f16 v3, v5, v3
	v_add_f16_e32 v5, v8, v24
	ds_write2_b32 v198, v4, v7 offset1:9
	ds_write_b32 v198, v3 offset:72
	v_add_f16_e32 v3, v24, v34
	v_lshrrev_b32_e32 v4, 16, v8
	v_fmac_f16_e32 v8, -0.5, v3
	v_sub_f16_e32 v3, v25, v32
	v_add_f16_e32 v7, v4, v25
	v_fmamk_f16 v6, v3, 0xbaee, v8
	v_fmac_f16_e32 v8, 0x3aee, v3
	v_add_f16_e32 v3, v25, v32
	v_fmac_f16_e32 v4, -0.5, v3
	v_sub_f16_e32 v3, v24, v34
	v_fmamk_f16 v11, v3, 0x3aee, v4
	v_fmac_f16_e32 v4, 0xbaee, v3
	v_pack_b32_f16 v3, v8, v4
	v_add_f16_e32 v4, v5, v34
	v_add_f16_e32 v5, v7, v32
	v_add_f16_e32 v7, v23, v20
	v_sub_f16_e32 v8, v23, v20
	v_pack_b32_f16 v4, v4, v5
	v_pack_b32_f16 v5, v6, v11
	ds_write2_b32 v200, v4, v5 offset1:9
	ds_write_b32 v200, v3 offset:72
	v_lshrrev_b32_e32 v3, 16, v9
	v_add_f16_e32 v5, v22, v21
	v_sub_f16_e32 v6, v22, v21
	v_add_f16_e32 v4, v3, v22
	v_fmac_f16_e32 v3, -0.5, v5
	v_add_f16_e32 v5, v9, v23
	v_add_f16_e32 v4, v4, v21
	;; [unrolled: 1-line block ×3, first 2 shown]
	v_pack_b32_f16 v4, v5, v4
	v_fma_f16 v5, -0.5, v7, v9
	v_fmamk_f16 v9, v8, 0x3aee, v3
	v_fmac_f16_e32 v3, 0xbaee, v8
	v_fmamk_f16 v7, v6, 0xbaee, v5
	v_fmac_f16_e32 v5, 0x3aee, v6
	v_pack_b32_f16 v7, v7, v9
	v_pack_b32_f16 v3, v5, v3
	v_add_f16_e32 v5, v10, v16
	ds_write2_b32 v201, v4, v7 offset1:9
	ds_write_b32 v201, v3 offset:72
	v_add_f16_e32 v3, v16, v19
	v_lshrrev_b32_e32 v4, 16, v10
	v_fmac_f16_e32 v10, -0.5, v3
	v_sub_f16_e32 v3, v17, v18
	v_add_f16_e32 v7, v4, v17
	v_fmamk_f16 v6, v3, 0xbaee, v10
	v_fmac_f16_e32 v10, 0x3aee, v3
	v_add_f16_e32 v3, v17, v18
	v_fmac_f16_e32 v4, -0.5, v3
	v_sub_f16_e32 v3, v16, v19
	v_fmamk_f16 v8, v3, 0x3aee, v4
	v_fmac_f16_e32 v4, 0xbaee, v3
	v_pack_b32_f16 v3, v10, v4
	v_add_f16_e32 v4, v5, v19
	v_add_f16_e32 v5, v7, v18
	v_pack_b32_f16 v4, v4, v5
	v_pack_b32_f16 v5, v6, v8
	ds_write2_b32 v202, v4, v5 offset1:9
	ds_write_b32 v202, v3 offset:72
	v_add_f16_e32 v3, v15, v12
	v_lshrrev_b32_e32 v4, 16, v2
	v_add_f16_e32 v5, v2, v15
	v_fmac_f16_e32 v2, -0.5, v3
	v_sub_f16_e32 v3, v14, v13
	v_add_f16_e32 v7, v4, v14
	v_fmamk_f16 v6, v3, 0xbaee, v2
	v_fmac_f16_e32 v2, 0x3aee, v3
	v_add_f16_e32 v3, v14, v13
	v_fmac_f16_e32 v4, -0.5, v3
	v_sub_f16_e32 v3, v15, v12
	v_fmamk_f16 v8, v3, 0x3aee, v4
	v_fmac_f16_e32 v4, 0xbaee, v3
	v_add_f16_e32 v3, v5, v12
	v_pack_b32_f16 v2, v2, v4
	v_add_f16_e32 v4, v7, v13
	v_pack_b32_f16 v3, v3, v4
	v_pack_b32_f16 v4, v6, v8
	ds_write2_b32 v203, v3, v4 offset1:9
	ds_write_b32 v203, v2 offset:72
	s_waitcnt lgkmcnt(0)
	s_barrier
	buffer_gl0_inv
	ds_read_b32 v2, v131 offset:25272
	s_waitcnt lgkmcnt(0)
	v_lshrrev_b32_e32 v3, 16, v2
	v_mul_f16_sdwa v11, v57, v3 dst_sel:DWORD dst_unused:UNUSED_PAD src0_sel:WORD_1 src1_sel:DWORD
	v_fmac_f16_e32 v11, v57, v2
	v_mul_f16_sdwa v2, v57, v2 dst_sel:DWORD dst_unused:UNUSED_PAD src0_sel:WORD_1 src1_sel:DWORD
	v_fma_f16 v12, v57, v3, -v2
	ds_read2_b32 v[2:3], v140 offset1:243
	s_waitcnt lgkmcnt(0)
	v_lshrrev_b32_e32 v4, 16, v3
	v_mul_f16_sdwa v5, v56, v3 dst_sel:DWORD dst_unused:UNUSED_PAD src0_sel:WORD_1 src1_sel:DWORD
	v_mul_f16_sdwa v14, v56, v4 dst_sel:DWORD dst_unused:UNUSED_PAD src0_sel:WORD_1 src1_sel:DWORD
	v_fma_f16 v13, v56, v4, -v5
	v_fmac_f16_e32 v14, v56, v3
	v_lshrrev_b32_e32 v3, 16, v2
	v_mul_f16_sdwa v15, v54, v3 dst_sel:DWORD dst_unused:UNUSED_PAD src0_sel:WORD_1 src1_sel:DWORD
	v_fmac_f16_e32 v15, v54, v2
	v_mul_f16_sdwa v2, v54, v2 dst_sel:DWORD dst_unused:UNUSED_PAD src0_sel:WORD_1 src1_sel:DWORD
	v_fma_f16 v16, v54, v3, -v2
	ds_read2_b32 v[2:3], v146 offset0:8 offset1:251
	s_waitcnt lgkmcnt(0)
	v_lshrrev_b32_e32 v4, 16, v3
	v_mul_f16_sdwa v5, v55, v3 dst_sel:DWORD dst_unused:UNUSED_PAD src0_sel:WORD_1 src1_sel:DWORD
	v_mul_f16_sdwa v18, v55, v4 dst_sel:DWORD dst_unused:UNUSED_PAD src0_sel:WORD_1 src1_sel:DWORD
	v_fma_f16 v17, v55, v4, -v5
	v_fmac_f16_e32 v18, v55, v3
	v_lshrrev_b32_e32 v3, 16, v2
	v_mul_f16_sdwa v19, v53, v3 dst_sel:DWORD dst_unused:UNUSED_PAD src0_sel:WORD_1 src1_sel:DWORD
	v_fmac_f16_e32 v19, v53, v2
	v_mul_f16_sdwa v2, v53, v2 dst_sel:DWORD dst_unused:UNUSED_PAD src0_sel:WORD_1 src1_sel:DWORD
	v_fma_f16 v20, v53, v3, -v2
	ds_read2_b32 v[2:3], v148 offset0:10 offset1:253
	;; [unrolled: 12-line block ×8, first 2 shown]
	s_waitcnt lgkmcnt(0)
	v_lshrrev_b32_e32 v4, 16, v3
	v_mul_f16_sdwa v7, v40, v3 dst_sel:DWORD dst_unused:UNUSED_PAD src0_sel:WORD_1 src1_sel:DWORD
	v_mul_f16_sdwa v8, v40, v4 dst_sel:DWORD dst_unused:UNUSED_PAD src0_sel:WORD_1 src1_sel:DWORD
	v_fma_f16 v7, v40, v4, -v7
	v_fmac_f16_e32 v8, v40, v3
	ds_read2_b32 v[3:4], v131 offset1:243
	v_add_f16_e32 v10, v7, v6
	v_sub_f16_e32 v41, v7, v6
	v_sub_f16_e32 v43, v8, v5
	s_waitcnt lgkmcnt(0)
	v_lshrrev_b32_e32 v40, 16, v3
	v_add_f16_e32 v9, v40, v7
	v_add_f16_e32 v7, v3, v8
	v_fmac_f16_e32 v40, -0.5, v10
	v_add_f16_e32 v6, v9, v6
	v_add_f16_e32 v9, v8, v5
	;; [unrolled: 1-line block ×3, first 2 shown]
	v_fma_f16 v3, -0.5, v9, v3
	v_pack_b32_f16 v46, v7, v6
	v_fmamk_f16 v6, v43, 0x3aee, v40
	v_fmac_f16_e32 v40, 0xbaee, v43
	v_fmamk_f16 v5, v41, 0xbaee, v3
	v_fmac_f16_e32 v3, 0x3aee, v41
	v_add_f16_e32 v41, v4, v39
	v_pack_b32_f16 v47, v5, v6
	v_pack_b32_f16 v3, v3, v40
	ds_read2_b32 v[5:6], v160 offset0:6 offset1:249
	ds_read2_b32 v[7:8], v154 offset0:12 offset1:255
	;; [unrolled: 1-line block ×3, first 2 shown]
	s_waitcnt lgkmcnt(0)
	s_barrier
	buffer_gl0_inv
	ds_write_b32 v204, v3 offset:216
	v_add_f16_e32 v3, v39, v45
	v_lshrrev_b32_e32 v40, 16, v4
	ds_write2_b32 v204, v46, v47 offset1:27
	v_fmac_f16_e32 v4, -0.5, v3
	v_sub_f16_e32 v3, v42, v44
	v_fmamk_f16 v43, v3, 0xbaee, v4
	v_fmac_f16_e32 v4, 0x3aee, v3
	v_add_f16_e32 v3, v42, v44
	v_add_f16_e32 v42, v40, v42
	v_fmac_f16_e32 v40, -0.5, v3
	v_sub_f16_e32 v3, v39, v45
	v_fmamk_f16 v39, v3, 0x3aee, v40
	v_fmac_f16_e32 v40, 0xbaee, v3
	v_pack_b32_f16 v39, v43, v39
	v_pack_b32_f16 v3, v4, v40
	v_add_f16_e32 v4, v41, v45
	v_add_f16_e32 v40, v42, v44
	v_pack_b32_f16 v4, v4, v40
	ds_write2_b32 v205, v4, v39 offset1:27
	ds_write_b32 v205, v3 offset:216
	v_lshrrev_b32_e32 v3, 16, v5
	v_add_f16_e32 v39, v37, v36
	v_add_f16_e32 v4, v3, v37
	v_sub_f16_e32 v37, v37, v36
	v_fmac_f16_e32 v3, -0.5, v39
	v_add_f16_e32 v39, v38, v35
	v_add_f16_e32 v4, v4, v36
	;; [unrolled: 1-line block ×3, first 2 shown]
	v_fma_f16 v5, -0.5, v39, v5
	v_add_f16_e32 v36, v36, v35
	v_sub_f16_e32 v35, v38, v35
	v_pack_b32_f16 v4, v36, v4
	v_fmamk_f16 v36, v37, 0xbaee, v5
	v_fmamk_f16 v38, v35, 0x3aee, v3
	v_fmac_f16_e32 v5, 0x3aee, v37
	v_fmac_f16_e32 v3, 0xbaee, v35
	v_pack_b32_f16 v36, v36, v38
	v_pack_b32_f16 v3, v5, v3
	v_add_f16_e32 v5, v6, v31
	ds_write2_b32 v206, v4, v36 offset1:27
	v_lshrrev_b32_e32 v4, 16, v6
	ds_write_b32 v206, v3 offset:216
	v_add_f16_e32 v3, v31, v34
	v_fmac_f16_e32 v6, -0.5, v3
	v_sub_f16_e32 v3, v32, v33
	v_fmamk_f16 v35, v3, 0xbaee, v6
	v_fmac_f16_e32 v6, 0x3aee, v3
	v_add_f16_e32 v3, v32, v33
	v_add_f16_e32 v32, v4, v32
	v_fmac_f16_e32 v4, -0.5, v3
	v_sub_f16_e32 v3, v31, v34
	v_fmamk_f16 v31, v3, 0x3aee, v4
	v_fmac_f16_e32 v4, 0xbaee, v3
	v_pack_b32_f16 v3, v6, v4
	v_add_f16_e32 v4, v5, v34
	v_add_f16_e32 v5, v32, v33
	v_sub_f16_e32 v6, v29, v28
	v_pack_b32_f16 v4, v4, v5
	v_pack_b32_f16 v5, v35, v31
	ds_write2_b32 v207, v4, v5 offset1:27
	ds_write_b32 v207, v3 offset:216
	v_lshrrev_b32_e32 v3, 16, v7
	v_add_f16_e32 v5, v29, v28
	v_add_f16_e32 v4, v3, v29
	v_fmac_f16_e32 v3, -0.5, v5
	v_add_f16_e32 v5, v7, v30
	v_add_f16_e32 v4, v4, v28
	;; [unrolled: 1-line block ×4, first 2 shown]
	v_sub_f16_e32 v27, v30, v27
	v_pack_b32_f16 v4, v5, v4
	v_fma_f16 v5, -0.5, v28, v7
	v_fmamk_f16 v28, v27, 0x3aee, v3
	v_fmac_f16_e32 v3, 0xbaee, v27
	v_fmamk_f16 v7, v6, 0xbaee, v5
	v_fmac_f16_e32 v5, 0x3aee, v6
	v_pack_b32_f16 v7, v7, v28
	v_pack_b32_f16 v3, v5, v3
	v_add_f16_e32 v5, v8, v23
	ds_write2_b32 v208, v4, v7 offset1:27
	ds_write_b32 v208, v3 offset:216
	v_add_f16_e32 v3, v23, v26
	v_lshrrev_b32_e32 v4, 16, v8
	v_fmac_f16_e32 v8, -0.5, v3
	v_sub_f16_e32 v3, v24, v25
	v_add_f16_e32 v7, v4, v24
	v_fmamk_f16 v6, v3, 0xbaee, v8
	v_fmac_f16_e32 v8, 0x3aee, v3
	v_add_f16_e32 v3, v24, v25
	v_fmac_f16_e32 v4, -0.5, v3
	v_sub_f16_e32 v3, v23, v26
	v_fmamk_f16 v23, v3, 0x3aee, v4
	v_fmac_f16_e32 v4, 0xbaee, v3
	v_pack_b32_f16 v3, v8, v4
	v_add_f16_e32 v4, v5, v26
	v_add_f16_e32 v5, v7, v25
	;; [unrolled: 1-line block ×3, first 2 shown]
	v_sub_f16_e32 v8, v22, v19
	v_pack_b32_f16 v4, v4, v5
	v_pack_b32_f16 v5, v6, v23
	ds_write2_b32 v209, v4, v5 offset1:27
	ds_write_b32 v209, v3 offset:216
	v_lshrrev_b32_e32 v3, 16, v9
	v_add_f16_e32 v5, v21, v20
	v_sub_f16_e32 v6, v21, v20
	v_add_f16_e32 v4, v3, v21
	v_fmac_f16_e32 v3, -0.5, v5
	v_add_f16_e32 v5, v9, v22
	v_add_f16_e32 v4, v4, v20
	;; [unrolled: 1-line block ×3, first 2 shown]
	v_pack_b32_f16 v4, v5, v4
	v_fma_f16 v5, -0.5, v7, v9
	v_fmamk_f16 v9, v8, 0x3aee, v3
	v_fmac_f16_e32 v3, 0xbaee, v8
	v_fmamk_f16 v7, v6, 0xbaee, v5
	v_fmac_f16_e32 v5, 0x3aee, v6
	v_pack_b32_f16 v7, v7, v9
	v_pack_b32_f16 v3, v5, v3
	v_add_f16_e32 v5, v10, v15
	ds_write2_b32 v210, v4, v7 offset1:27
	ds_write_b32 v210, v3 offset:216
	v_add_f16_e32 v3, v15, v18
	v_lshrrev_b32_e32 v4, 16, v10
	v_fmac_f16_e32 v10, -0.5, v3
	v_sub_f16_e32 v3, v16, v17
	v_add_f16_e32 v7, v4, v16
	v_fmamk_f16 v6, v3, 0xbaee, v10
	v_fmac_f16_e32 v10, 0x3aee, v3
	v_add_f16_e32 v3, v16, v17
	v_fmac_f16_e32 v4, -0.5, v3
	v_sub_f16_e32 v3, v15, v18
	v_fmamk_f16 v8, v3, 0x3aee, v4
	v_fmac_f16_e32 v4, 0xbaee, v3
	v_pack_b32_f16 v3, v10, v4
	v_add_f16_e32 v4, v5, v18
	v_add_f16_e32 v5, v7, v17
	v_pack_b32_f16 v4, v4, v5
	v_pack_b32_f16 v5, v6, v8
	ds_write2_b32 v211, v4, v5 offset1:27
	ds_write_b32 v211, v3 offset:216
	v_add_f16_e32 v3, v14, v11
	v_lshrrev_b32_e32 v4, 16, v2
	v_add_f16_e32 v5, v2, v14
	v_fmac_f16_e32 v2, -0.5, v3
	v_sub_f16_e32 v3, v13, v12
	v_add_f16_e32 v7, v4, v13
	v_fmamk_f16 v6, v3, 0xbaee, v2
	v_fmac_f16_e32 v2, 0x3aee, v3
	v_add_f16_e32 v3, v13, v12
	v_fmac_f16_e32 v4, -0.5, v3
	v_sub_f16_e32 v3, v14, v11
	v_fmamk_f16 v8, v3, 0x3aee, v4
	v_fmac_f16_e32 v4, 0xbaee, v3
	v_add_f16_e32 v3, v5, v11
	v_pack_b32_f16 v2, v2, v4
	v_add_f16_e32 v4, v7, v12
	v_pack_b32_f16 v3, v3, v4
	v_pack_b32_f16 v4, v6, v8
	ds_write2_b32 v213, v3, v4 offset1:27
	ds_write_b32 v213, v2 offset:216
	s_waitcnt lgkmcnt(0)
	s_barrier
	buffer_gl0_inv
	ds_read_b32 v2, v131 offset:25272
	s_waitcnt lgkmcnt(0)
	v_lshrrev_b32_e32 v3, 16, v2
	v_mul_f16_sdwa v11, v83, v3 dst_sel:DWORD dst_unused:UNUSED_PAD src0_sel:WORD_1 src1_sel:DWORD
	v_fmac_f16_e32 v11, v83, v2
	v_mul_f16_sdwa v2, v83, v2 dst_sel:DWORD dst_unused:UNUSED_PAD src0_sel:WORD_1 src1_sel:DWORD
	v_fma_f16 v12, v83, v3, -v2
	ds_read2_b32 v[2:3], v140 offset1:243
	s_waitcnt lgkmcnt(0)
	v_lshrrev_b32_e32 v4, 16, v3
	v_mul_f16_sdwa v5, v82, v3 dst_sel:DWORD dst_unused:UNUSED_PAD src0_sel:WORD_1 src1_sel:DWORD
	v_mul_f16_sdwa v14, v82, v4 dst_sel:DWORD dst_unused:UNUSED_PAD src0_sel:WORD_1 src1_sel:DWORD
	v_fma_f16 v13, v82, v4, -v5
	v_fmac_f16_e32 v14, v82, v3
	v_lshrrev_b32_e32 v3, 16, v2
	v_mul_f16_sdwa v15, v80, v3 dst_sel:DWORD dst_unused:UNUSED_PAD src0_sel:WORD_1 src1_sel:DWORD
	v_fmac_f16_e32 v15, v80, v2
	v_mul_f16_sdwa v2, v80, v2 dst_sel:DWORD dst_unused:UNUSED_PAD src0_sel:WORD_1 src1_sel:DWORD
	v_fma_f16 v16, v80, v3, -v2
	ds_read2_b32 v[2:3], v146 offset0:8 offset1:251
	s_waitcnt lgkmcnt(0)
	v_lshrrev_b32_e32 v4, 16, v3
	v_mul_f16_sdwa v5, v81, v3 dst_sel:DWORD dst_unused:UNUSED_PAD src0_sel:WORD_1 src1_sel:DWORD
	v_mul_f16_sdwa v18, v81, v4 dst_sel:DWORD dst_unused:UNUSED_PAD src0_sel:WORD_1 src1_sel:DWORD
	v_fma_f16 v17, v81, v4, -v5
	v_fmac_f16_e32 v18, v81, v3
	v_lshrrev_b32_e32 v3, 16, v2
	v_mul_f16_sdwa v19, v79, v3 dst_sel:DWORD dst_unused:UNUSED_PAD src0_sel:WORD_1 src1_sel:DWORD
	v_fmac_f16_e32 v19, v79, v2
	v_mul_f16_sdwa v2, v79, v2 dst_sel:DWORD dst_unused:UNUSED_PAD src0_sel:WORD_1 src1_sel:DWORD
	v_fma_f16 v20, v79, v3, -v2
	ds_read2_b32 v[2:3], v148 offset0:10 offset1:253
	;; [unrolled: 12-line block ×8, first 2 shown]
	s_waitcnt lgkmcnt(0)
	v_lshrrev_b32_e32 v4, 16, v3
	v_mul_f16_sdwa v7, v58, v3 dst_sel:DWORD dst_unused:UNUSED_PAD src0_sel:WORD_1 src1_sel:DWORD
	v_mul_f16_sdwa v8, v58, v4 dst_sel:DWORD dst_unused:UNUSED_PAD src0_sel:WORD_1 src1_sel:DWORD
	v_fma_f16 v7, v58, v4, -v7
	v_fmac_f16_e32 v8, v58, v3
	ds_read2_b32 v[3:4], v131 offset1:243
	v_add_f16_e32 v10, v7, v6
	v_sub_f16_e32 v44, v7, v6
	v_sub_f16_e32 v45, v8, v5
	s_waitcnt lgkmcnt(0)
	v_lshrrev_b32_e32 v43, 16, v3
	v_add_f16_e32 v9, v43, v7
	v_add_f16_e32 v7, v3, v8
	v_fmac_f16_e32 v43, -0.5, v10
	v_add_f16_e32 v6, v9, v6
	v_add_f16_e32 v9, v8, v5
	;; [unrolled: 1-line block ×3, first 2 shown]
	v_fma_f16 v3, -0.5, v9, v3
	v_pack_b32_f16 v46, v7, v6
	v_fmamk_f16 v6, v45, 0x3aee, v43
	v_fmac_f16_e32 v43, 0xbaee, v45
	v_fmamk_f16 v5, v44, 0xbaee, v3
	v_fmac_f16_e32 v3, 0x3aee, v44
	v_add_f16_e32 v44, v4, v39
	v_pack_b32_f16 v47, v5, v6
	v_pack_b32_f16 v3, v3, v43
	ds_read2_b32 v[5:6], v160 offset0:6 offset1:249
	ds_read2_b32 v[7:8], v154 offset0:12 offset1:255
	;; [unrolled: 1-line block ×3, first 2 shown]
	s_waitcnt lgkmcnt(0)
	s_barrier
	buffer_gl0_inv
	ds_write_b32 v212, v3 offset:648
	v_add_f16_e32 v3, v39, v42
	v_lshrrev_b32_e32 v43, 16, v4
	ds_write2_b32 v212, v46, v47 offset1:81
	v_fmac_f16_e32 v4, -0.5, v3
	v_sub_f16_e32 v3, v40, v41
	v_fmamk_f16 v45, v3, 0xbaee, v4
	v_fmac_f16_e32 v4, 0x3aee, v3
	v_add_f16_e32 v3, v40, v41
	v_add_f16_e32 v40, v43, v40
	v_fmac_f16_e32 v43, -0.5, v3
	v_sub_f16_e32 v3, v39, v42
	v_add_f16_e32 v40, v40, v41
	v_fmamk_f16 v39, v3, 0x3aee, v43
	v_fmac_f16_e32 v43, 0xbaee, v3
	v_pack_b32_f16 v39, v45, v39
	v_pack_b32_f16 v3, v4, v43
	v_add_f16_e32 v4, v44, v42
	v_pack_b32_f16 v4, v4, v40
	ds_write2_b32 v218, v4, v39 offset1:81
	ds_write_b32 v218, v3 offset:648
	v_lshrrev_b32_e32 v3, 16, v5
	v_add_f16_e32 v39, v37, v36
	v_add_f16_e32 v4, v3, v37
	v_sub_f16_e32 v37, v37, v36
	v_fmac_f16_e32 v3, -0.5, v39
	v_add_f16_e32 v39, v38, v35
	v_add_f16_e32 v4, v4, v36
	;; [unrolled: 1-line block ×3, first 2 shown]
	v_fma_f16 v5, -0.5, v39, v5
	v_add_f16_e32 v36, v36, v35
	v_sub_f16_e32 v35, v38, v35
	v_pack_b32_f16 v4, v36, v4
	v_fmamk_f16 v36, v37, 0xbaee, v5
	v_fmamk_f16 v38, v35, 0x3aee, v3
	v_fmac_f16_e32 v5, 0x3aee, v37
	v_fmac_f16_e32 v3, 0xbaee, v35
	v_pack_b32_f16 v36, v36, v38
	v_pack_b32_f16 v3, v5, v3
	v_add_f16_e32 v5, v6, v31
	ds_write2_b32 v220, v4, v36 offset1:81
	v_lshrrev_b32_e32 v4, 16, v6
	ds_write_b32 v220, v3 offset:648
	v_add_f16_e32 v3, v31, v34
	v_fmac_f16_e32 v6, -0.5, v3
	v_sub_f16_e32 v3, v32, v33
	v_fmamk_f16 v35, v3, 0xbaee, v6
	v_fmac_f16_e32 v6, 0x3aee, v3
	v_add_f16_e32 v3, v32, v33
	v_add_f16_e32 v32, v4, v32
	v_fmac_f16_e32 v4, -0.5, v3
	v_sub_f16_e32 v3, v31, v34
	v_fmamk_f16 v31, v3, 0x3aee, v4
	v_fmac_f16_e32 v4, 0xbaee, v3
	v_pack_b32_f16 v3, v6, v4
	v_add_f16_e32 v4, v5, v34
	v_add_f16_e32 v5, v32, v33
	v_sub_f16_e32 v6, v29, v28
	v_pack_b32_f16 v4, v4, v5
	v_pack_b32_f16 v5, v35, v31
	ds_write2_b32 v221, v4, v5 offset1:81
	ds_write_b32 v221, v3 offset:648
	v_lshrrev_b32_e32 v3, 16, v7
	v_add_f16_e32 v5, v29, v28
	v_add_f16_e32 v4, v3, v29
	v_fmac_f16_e32 v3, -0.5, v5
	v_add_f16_e32 v5, v7, v30
	v_add_f16_e32 v4, v4, v28
	;; [unrolled: 1-line block ×4, first 2 shown]
	v_sub_f16_e32 v27, v30, v27
	v_pack_b32_f16 v4, v5, v4
	v_fma_f16 v5, -0.5, v28, v7
	v_fmamk_f16 v28, v27, 0x3aee, v3
	v_fmac_f16_e32 v3, 0xbaee, v27
	v_fmamk_f16 v7, v6, 0xbaee, v5
	v_fmac_f16_e32 v5, 0x3aee, v6
	v_pack_b32_f16 v7, v7, v28
	v_pack_b32_f16 v3, v5, v3
	v_add_f16_e32 v5, v8, v23
	ds_write2_b32 v222, v4, v7 offset1:81
	ds_write_b32 v222, v3 offset:648
	v_add_f16_e32 v3, v23, v26
	v_lshrrev_b32_e32 v4, 16, v8
	v_fmac_f16_e32 v8, -0.5, v3
	v_sub_f16_e32 v3, v24, v25
	v_add_f16_e32 v7, v4, v24
	v_fmamk_f16 v6, v3, 0xbaee, v8
	v_fmac_f16_e32 v8, 0x3aee, v3
	v_add_f16_e32 v3, v24, v25
	v_fmac_f16_e32 v4, -0.5, v3
	v_sub_f16_e32 v3, v23, v26
	v_fmamk_f16 v23, v3, 0x3aee, v4
	v_fmac_f16_e32 v4, 0xbaee, v3
	v_pack_b32_f16 v3, v8, v4
	v_add_f16_e32 v4, v5, v26
	v_add_f16_e32 v5, v7, v25
	;; [unrolled: 1-line block ×3, first 2 shown]
	v_sub_f16_e32 v8, v22, v19
	v_pack_b32_f16 v4, v4, v5
	v_pack_b32_f16 v5, v6, v23
	ds_write2_b32 v224, v4, v5 offset1:81
	ds_write_b32 v224, v3 offset:648
	v_lshrrev_b32_e32 v3, 16, v9
	v_add_f16_e32 v5, v21, v20
	v_sub_f16_e32 v6, v21, v20
	v_add_f16_e32 v4, v3, v21
	v_fmac_f16_e32 v3, -0.5, v5
	v_add_f16_e32 v5, v9, v22
	v_add_f16_e32 v4, v4, v20
	;; [unrolled: 1-line block ×4, first 2 shown]
	v_pack_b32_f16 v4, v5, v4
	v_fma_f16 v5, -0.5, v7, v9
	v_fmamk_f16 v9, v8, 0x3aee, v3
	v_fmac_f16_e32 v3, 0xbaee, v8
	v_fmamk_f16 v7, v6, 0xbaee, v5
	v_fmac_f16_e32 v5, 0x3aee, v6
	v_pack_b32_f16 v7, v7, v9
	v_add_f16_e32 v9, v10, v15
	v_pack_b32_f16 v3, v5, v3
	ds_write2_b32 v219, v4, v7 offset1:81
	v_add_f16_e32 v4, v15, v18
	v_lshrrev_b32_e32 v7, 16, v10
	ds_write_b32 v219, v3 offset:648
	v_add_f16_e32 v3, v9, v18
	v_fmac_f16_e32 v10, -0.5, v4
	v_sub_f16_e32 v4, v16, v17
	v_fmamk_f16 v19, v4, 0xbaee, v10
	v_fmac_f16_e32 v10, 0x3aee, v4
	v_add_f16_e32 v4, v16, v17
	v_add_f16_e32 v16, v7, v16
	v_fmac_f16_e32 v7, -0.5, v4
	v_sub_f16_e32 v4, v15, v18
	v_add_f16_e32 v5, v16, v17
	v_fmamk_f16 v15, v4, 0x3aee, v7
	v_fmac_f16_e32 v7, 0xbaee, v4
	v_pack_b32_f16 v3, v3, v5
	v_pack_b32_f16 v5, v19, v15
	;; [unrolled: 1-line block ×3, first 2 shown]
	v_add_f16_e32 v7, v14, v11
	v_lshrrev_b32_e32 v10, 16, v2
	ds_write2_b32 v223, v3, v5 offset1:81
	ds_write_b32 v223, v4 offset:648
	v_add_f16_e32 v3, v20, v11
	v_fmac_f16_e32 v2, -0.5, v7
	v_add_f16_e32 v7, v13, v12
	v_add_f16_e32 v21, v10, v13
	v_fmac_f16_e32 v10, -0.5, v7
	v_sub_f16_e32 v7, v13, v12
	v_add_f16_e32 v4, v21, v12
	v_fmamk_f16 v13, v7, 0xbaee, v2
	v_fmac_f16_e32 v2, 0x3aee, v7
	v_sub_f16_e32 v7, v14, v11
	v_pack_b32_f16 v3, v3, v4
	v_fmamk_f16 v14, v7, 0x3aee, v10
	v_fmac_f16_e32 v10, 0xbaee, v7
	v_pack_b32_f16 v4, v13, v14
	v_pack_b32_f16 v2, v2, v10
	ds_write2_b32 v225, v3, v4 offset1:81
	ds_write_b32 v225, v2 offset:648
	s_waitcnt lgkmcnt(0)
	s_barrier
	buffer_gl0_inv
	ds_read_b32 v3, v131 offset:25272
	ds_read2_b32 v[6:7], v140 offset1:243
	s_waitcnt lgkmcnt(1)
	v_lshrrev_b32_e32 v4, 16, v3
	s_waitcnt lgkmcnt(0)
	v_mul_f16_sdwa v5, v98, v7 dst_sel:DWORD dst_unused:UNUSED_PAD src0_sel:WORD_1 src1_sel:DWORD
	v_mul_f16_sdwa v2, v99, v4 dst_sel:DWORD dst_unused:UNUSED_PAD src0_sel:WORD_1 src1_sel:DWORD
	v_fmac_f16_e32 v2, v99, v3
	v_mul_f16_sdwa v3, v99, v3 dst_sel:DWORD dst_unused:UNUSED_PAD src0_sel:WORD_1 src1_sel:DWORD
	v_fma_f16 v3, v99, v4, -v3
	v_lshrrev_b32_e32 v4, 16, v7
	v_fma_f16 v5, v98, v4, -v5
	v_mul_f16_sdwa v4, v98, v4 dst_sel:DWORD dst_unused:UNUSED_PAD src0_sel:WORD_1 src1_sel:DWORD
	v_fmac_f16_e32 v4, v98, v7
	v_lshrrev_b32_e32 v7, 16, v6
	v_mul_f16_sdwa v15, v96, v7 dst_sel:DWORD dst_unused:UNUSED_PAD src0_sel:WORD_1 src1_sel:DWORD
	v_fmac_f16_e32 v15, v96, v6
	v_mul_f16_sdwa v6, v96, v6 dst_sel:DWORD dst_unused:UNUSED_PAD src0_sel:WORD_1 src1_sel:DWORD
	v_fma_f16 v16, v96, v7, -v6
	ds_read2_b32 v[6:7], v146 offset0:8 offset1:251
	s_waitcnt lgkmcnt(0)
	v_lshrrev_b32_e32 v8, 16, v7
	v_mul_f16_sdwa v9, v97, v7 dst_sel:DWORD dst_unused:UNUSED_PAD src0_sel:WORD_1 src1_sel:DWORD
	v_mul_f16_sdwa v18, v97, v8 dst_sel:DWORD dst_unused:UNUSED_PAD src0_sel:WORD_1 src1_sel:DWORD
	v_fma_f16 v17, v97, v8, -v9
	v_fmac_f16_e32 v18, v97, v7
	v_lshrrev_b32_e32 v7, 16, v6
	v_mul_f16_sdwa v19, v95, v7 dst_sel:DWORD dst_unused:UNUSED_PAD src0_sel:WORD_1 src1_sel:DWORD
	v_fmac_f16_e32 v19, v95, v6
	v_mul_f16_sdwa v6, v95, v6 dst_sel:DWORD dst_unused:UNUSED_PAD src0_sel:WORD_1 src1_sel:DWORD
	v_fma_f16 v20, v95, v7, -v6
	ds_read2_b32 v[6:7], v148 offset0:10 offset1:253
	s_waitcnt lgkmcnt(0)
	v_lshrrev_b32_e32 v8, 16, v7
	v_mul_f16_sdwa v9, v94, v7 dst_sel:DWORD dst_unused:UNUSED_PAD src0_sel:WORD_1 src1_sel:DWORD
	v_mul_f16_sdwa v22, v94, v8 dst_sel:DWORD dst_unused:UNUSED_PAD src0_sel:WORD_1 src1_sel:DWORD
	v_fma_f16 v21, v94, v8, -v9
	;; [unrolled: 12-line block ×6, first 2 shown]
	v_lshrrev_b32_e32 v8, 16, v6
	v_mul_f16_sdwa v9, v60, v6 dst_sel:DWORD dst_unused:UNUSED_PAD src0_sel:WORD_1 src1_sel:DWORD
	v_fmac_f16_e32 v38, v86, v7
	v_mul_f16_sdwa v39, v60, v8 dst_sel:DWORD dst_unused:UNUSED_PAD src0_sel:WORD_1 src1_sel:DWORD
	v_fma_f16 v41, v60, v8, -v9
	v_fmac_f16_e32 v39, v60, v6
	ds_read2_b32 v[6:7], v172 offset0:6 offset1:249
	s_waitcnt lgkmcnt(0)
	v_lshrrev_b32_e32 v10, 16, v6
	v_lshrrev_b32_e32 v12, 16, v7
	v_mul_f16_sdwa v11, v61, v10 dst_sel:DWORD dst_unused:UNUSED_PAD src0_sel:WORD_1 src1_sel:DWORD
	v_mul_f16_sdwa v40, v61, v12 dst_sel:DWORD dst_unused:UNUSED_PAD src0_sel:WORD_1 src1_sel:DWORD
	v_fmac_f16_e32 v11, v61, v6
	v_fmac_f16_e32 v40, v61, v7
	v_mul_f16_sdwa v6, v61, v6 dst_sel:DWORD dst_unused:UNUSED_PAD src0_sel:WORD_1 src1_sel:DWORD
	v_mul_f16_sdwa v7, v61, v7 dst_sel:DWORD dst_unused:UNUSED_PAD src0_sel:WORD_1 src1_sel:DWORD
	v_fma_f16 v10, v61, v10, -v6
	v_fma_f16 v42, v61, v12, -v7
	ds_read2_b32 v[6:7], v173 offset0:8 offset1:251
	s_waitcnt lgkmcnt(0)
	v_lshrrev_b32_e32 v8, 16, v7
	v_mul_f16_sdwa v9, v60, v7 dst_sel:DWORD dst_unused:UNUSED_PAD src0_sel:WORD_1 src1_sel:DWORD
	v_mul_f16_sdwa v12, v60, v8 dst_sel:DWORD dst_unused:UNUSED_PAD src0_sel:WORD_1 src1_sel:DWORD
	v_fma_f16 v9, v60, v8, -v9
	v_fmac_f16_e32 v12, v60, v7
	ds_read2_b32 v[7:8], v131 offset1:243
	v_add_f16_e32 v14, v9, v10
	v_sub_f16_e32 v44, v9, v10
	v_sub_f16_e32 v45, v12, v11
	s_waitcnt lgkmcnt(0)
	v_lshrrev_b32_e32 v43, 16, v7
	v_add_f16_e32 v13, v43, v9
	v_fmac_f16_e32 v43, -0.5, v14
	v_add_f16_e32 v9, v13, v10
	v_add_f16_e32 v10, v7, v12
	;; [unrolled: 1-line block ×4, first 2 shown]
	v_fma_f16 v7, -0.5, v13, v7
	v_pack_b32_f16 v46, v10, v9
	v_fmamk_f16 v9, v44, 0xbaee, v7
	v_fmamk_f16 v10, v45, 0x3aee, v43
	v_fmac_f16_e32 v7, 0x3aee, v44
	v_fmac_f16_e32 v43, 0xbaee, v45
	v_lshrrev_b32_e32 v44, 16, v8
	v_pack_b32_f16 v47, v9, v10
	ds_read2_b32 v[9:10], v160 offset0:6 offset1:249
	ds_read2_b32 v[11:12], v154 offset0:12 offset1:255
	;; [unrolled: 1-line block ×3, first 2 shown]
	v_pack_b32_f16 v7, v7, v43
	v_add_f16_e32 v43, v8, v39
	v_add_f16_e32 v45, v44, v41
	s_waitcnt lgkmcnt(0)
	s_barrier
	buffer_gl0_inv
	v_add_f16_e32 v43, v43, v40
	v_add_f16_e32 v45, v45, v42
	ds_write2_b32 v131, v46, v47 offset1:243
	v_pack_b32_f16 v43, v43, v45
	ds_write2_b32 v160, v7, v43 offset0:6 offset1:249
	v_add_f16_e32 v7, v39, v40
	v_fmac_f16_e32 v8, -0.5, v7
	v_add_f16_e32 v7, v41, v42
	v_sub_f16_e32 v41, v41, v42
	v_fmac_f16_e32 v44, -0.5, v7
	v_sub_f16_e32 v7, v39, v40
	v_fmamk_f16 v39, v41, 0xbaee, v8
	v_fmac_f16_e32 v8, 0x3aee, v41
	v_fmamk_f16 v40, v7, 0x3aee, v44
	v_fmac_f16_e32 v44, 0xbaee, v7
	v_pack_b32_f16 v7, v8, v44
	v_pack_b32_f16 v8, v39, v40
	v_add_f16_e32 v39, v37, v36
	ds_write2_b32 v154, v8, v7 offset0:12 offset1:255
	v_lshrrev_b32_e32 v7, 16, v9
	v_add_f16_e32 v8, v7, v37
	v_sub_f16_e32 v37, v37, v36
	v_fmac_f16_e32 v7, -0.5, v39
	v_add_f16_e32 v39, v38, v35
	v_add_f16_e32 v8, v8, v36
	v_add_f16_e32 v36, v9, v38
	v_fma_f16 v9, -0.5, v39, v9
	v_add_f16_e32 v39, v32, v33
	v_add_f16_e32 v36, v36, v35
	v_sub_f16_e32 v35, v38, v35
	v_pack_b32_f16 v8, v36, v8
	v_fmamk_f16 v36, v37, 0xbaee, v9
	v_fmamk_f16 v38, v35, 0x3aee, v7
	v_fmac_f16_e32 v9, 0x3aee, v37
	v_fmac_f16_e32 v7, 0xbaee, v35
	v_pack_b32_f16 v36, v36, v38
	v_add_f16_e32 v38, v10, v31
	ds_write2_b32 v238, v8, v36 offset0:2 offset1:245
	v_add_f16_e32 v8, v31, v34
	v_lshrrev_b32_e32 v36, 16, v10
	v_sub_f16_e32 v31, v31, v34
	v_fmac_f16_e32 v10, -0.5, v8
	v_add_f16_e32 v8, v36, v32
	v_sub_f16_e32 v32, v32, v33
	v_fmac_f16_e32 v36, -0.5, v39
	v_add_f16_e32 v8, v8, v33
	v_add_f16_e32 v33, v38, v34
	v_fmamk_f16 v34, v31, 0x3aee, v36
	v_add_f16_e32 v38, v30, v27
	v_fmac_f16_e32 v36, 0xbaee, v31
	v_pack_b32_f16 v8, v33, v8
	v_fmamk_f16 v33, v32, 0xbaee, v10
	v_fmac_f16_e32 v10, 0x3aee, v32
	v_pack_b32_f16 v33, v33, v34
	ds_write2_b32 v239, v8, v33 offset0:11 offset1:254
	v_lshrrev_b32_e32 v8, 16, v11
	v_add_f16_e32 v33, v29, v28
	v_add_f16_e32 v34, v8, v29
	v_fmac_f16_e32 v8, -0.5, v33
	v_add_f16_e32 v33, v11, v30
	v_fma_f16 v11, -0.5, v38, v11
	v_add_f16_e32 v33, v33, v27
	v_sub_f16_e32 v27, v30, v27
	v_add_f16_e32 v30, v34, v28
	v_sub_f16_e32 v28, v29, v28
	v_pack_b32_f16 v29, v33, v30
	v_fmamk_f16 v30, v28, 0xbaee, v11
	v_fmamk_f16 v33, v27, 0x3aee, v8
	v_fmac_f16_e32 v11, 0x3aee, v28
	v_fmac_f16_e32 v8, 0xbaee, v27
	v_pack_b32_f16 v30, v30, v33
	v_add_f16_e32 v33, v12, v23
	ds_write2_b32 v232, v29, v30 offset0:4 offset1:247
	v_add_f16_e32 v29, v23, v26
	v_lshrrev_b32_e32 v30, 16, v12
	v_sub_f16_e32 v23, v23, v26
	v_fmac_f16_e32 v12, -0.5, v29
	v_add_f16_e32 v29, v24, v25
	v_add_f16_e32 v34, v30, v24
	v_sub_f16_e32 v24, v24, v25
	v_fmac_f16_e32 v30, -0.5, v29
	v_add_f16_e32 v25, v34, v25
	v_add_f16_e32 v29, v33, v26
	v_fmamk_f16 v26, v24, 0xbaee, v12
	v_add_f16_e32 v33, v22, v19
	v_fmac_f16_e32 v12, 0x3aee, v24
	v_pack_b32_f16 v25, v29, v25
	v_fmamk_f16 v29, v23, 0x3aee, v30
	v_fmac_f16_e32 v30, 0xbaee, v23
	v_pack_b32_f16 v26, v26, v29
	ds_write2_b32 v233, v25, v26 offset0:5 offset1:248
	v_lshrrev_b32_e32 v25, 16, v13
	v_add_f16_e32 v26, v21, v20
	v_add_f16_e32 v29, v25, v21
	v_fmac_f16_e32 v25, -0.5, v26
	v_add_f16_e32 v26, v13, v22
	v_fma_f16 v13, -0.5, v33, v13
	v_add_f16_e32 v26, v26, v19
	v_sub_f16_e32 v19, v22, v19
	v_add_f16_e32 v22, v29, v20
	v_sub_f16_e32 v20, v21, v20
	v_pack_b32_f16 v21, v26, v22
	v_fmamk_f16 v22, v20, 0xbaee, v13
	v_fmamk_f16 v26, v19, 0x3aee, v25
	v_fmac_f16_e32 v13, 0x3aee, v20
	v_fmac_f16_e32 v25, 0xbaee, v19
	v_pack_b32_f16 v22, v22, v26
	v_add_f16_e32 v26, v14, v15
	ds_write2_b32 v235, v21, v22 offset0:6 offset1:249
	v_add_f16_e32 v21, v15, v18
	v_lshrrev_b32_e32 v22, 16, v14
	v_sub_f16_e32 v15, v15, v18
	v_fmac_f16_e32 v14, -0.5, v21
	v_add_f16_e32 v21, v16, v17
	v_add_f16_e32 v29, v22, v16
	v_sub_f16_e32 v16, v16, v17
	v_fmac_f16_e32 v22, -0.5, v21
	v_add_f16_e32 v17, v29, v17
	v_add_f16_e32 v21, v26, v18
	v_fmamk_f16 v18, v16, 0xbaee, v14
	v_fmac_f16_e32 v14, 0x3aee, v16
	v_pack_b32_f16 v17, v21, v17
	v_fmamk_f16 v21, v15, 0x3aee, v22
	v_fmac_f16_e32 v22, 0xbaee, v15
	v_pack_b32_f16 v18, v18, v21
	v_add_f16_e32 v21, v6, v4
	ds_write2_b32 v236, v17, v18 offset0:7 offset1:250
	v_add_f16_e32 v17, v4, v2
	v_lshrrev_b32_e32 v18, 16, v6
	v_fmac_f16_e32 v6, -0.5, v17
	v_add_f16_e32 v17, v5, v3
	v_add_f16_e32 v26, v18, v5
	v_sub_f16_e32 v5, v5, v3
	v_fmac_f16_e32 v18, -0.5, v17
	v_add_f16_e32 v3, v26, v3
	v_add_f16_e32 v17, v21, v2
	v_sub_f16_e32 v2, v4, v2
	v_fmamk_f16 v4, v5, 0xbaee, v6
	v_fmac_f16_e32 v6, 0x3aee, v5
	v_pack_b32_f16 v3, v17, v3
	v_fmamk_f16 v17, v2, 0x3aee, v18
	v_fmac_f16_e32 v18, 0xbaee, v2
	v_pack_b32_f16 v4, v4, v17
	v_pack_b32_f16 v2, v6, v18
	ds_write2_b32 v237, v3, v4 offset0:8 offset1:251
	v_pack_b32_f16 v4, v9, v7
	v_pack_b32_f16 v3, v10, v36
	ds_write_b32 v226, v4 offset:7776
	ds_write_b32 v227, v3 offset:10692
	v_pack_b32_f16 v4, v11, v8
	v_pack_b32_f16 v3, v12, v30
	ds_write_b32 v228, v4 offset:13608
	ds_write_b32 v229, v3 offset:16524
	;; [unrolled: 4-line block ×3, first 2 shown]
	ds_write_b32 v234, v2 offset:25272
	s_waitcnt lgkmcnt(0)
	s_barrier
	buffer_gl0_inv
	ds_read2_b32 v[3:4], v166 offset0:6 offset1:249
	s_waitcnt lgkmcnt(0)
	v_lshrrev_b32_e32 v2, 16, v3
	v_mul_f16_sdwa v5, v84, v3 dst_sel:DWORD dst_unused:UNUSED_PAD src0_sel:WORD_1 src1_sel:DWORD
	v_mul_f16_sdwa v12, v84, v2 dst_sel:DWORD dst_unused:UNUSED_PAD src0_sel:WORD_1 src1_sel:DWORD
	v_fma_f16 v11, v84, v2, -v5
	ds_read2_b32 v[5:6], v172 offset0:6 offset1:249
	v_fmac_f16_e32 v12, v84, v3
	ds_read_b32 v3, v131 offset:25272
	s_waitcnt lgkmcnt(1)
	v_lshrrev_b32_e32 v2, 16, v6
	v_mul_f16_sdwa v7, v85, v6 dst_sel:DWORD dst_unused:UNUSED_PAD src0_sel:WORD_1 src1_sel:DWORD
	v_mul_f16_sdwa v14, v85, v2 dst_sel:DWORD dst_unused:UNUSED_PAD src0_sel:WORD_1 src1_sel:DWORD
	v_fma_f16 v13, v85, v2, -v7
	ds_read2_b32 v[7:8], v157 offset0:4 offset1:247
	v_fmac_f16_e32 v14, v85, v6
	s_waitcnt lgkmcnt(1)
	v_lshrrev_b32_e32 v6, 16, v3
	s_waitcnt lgkmcnt(0)
	v_lshrrev_b32_e32 v2, 16, v8
	v_mul_f16_sdwa v9, v84, v8 dst_sel:DWORD dst_unused:UNUSED_PAD src0_sel:WORD_1 src1_sel:DWORD
	v_mul_f16_sdwa v16, v84, v2 dst_sel:DWORD dst_unused:UNUSED_PAD src0_sel:WORD_1 src1_sel:DWORD
	v_fma_f16 v15, v84, v2, -v9
	ds_read2_b32 v[9:10], v153 offset0:2 offset1:245
	v_fmac_f16_e32 v16, v84, v8
	s_waitcnt lgkmcnt(0)
	v_lshrrev_b32_e32 v2, 16, v9
	v_mul_f16_sdwa v17, v85, v9 dst_sel:DWORD dst_unused:UNUSED_PAD src0_sel:WORD_1 src1_sel:DWORD
	v_lshrrev_b32_e32 v31, 16, v10
	v_mul_f16_sdwa v18, v85, v2 dst_sel:DWORD dst_unused:UNUSED_PAD src0_sel:WORD_1 src1_sel:DWORD
	v_fma_f16 v17, v85, v2, -v17
	v_mul_f16_sdwa v2, v109, v6 dst_sel:DWORD dst_unused:UNUSED_PAD src0_sel:WORD_1 src1_sel:DWORD
	v_mul_f16_sdwa v32, v101, v31 dst_sel:DWORD dst_unused:UNUSED_PAD src0_sel:WORD_1 src1_sel:DWORD
	v_fmac_f16_e32 v18, v85, v9
	ds_read2_b32 v[8:9], v140 offset1:243
	v_fmac_f16_e32 v2, v109, v3
	v_mul_f16_sdwa v3, v109, v3 dst_sel:DWORD dst_unused:UNUSED_PAD src0_sel:WORD_1 src1_sel:DWORD
	v_fmac_f16_e32 v32, v101, v10
	v_mul_f16_sdwa v10, v101, v10 dst_sel:DWORD dst_unused:UNUSED_PAD src0_sel:WORD_1 src1_sel:DWORD
	v_fma_f16 v3, v109, v6, -v3
	v_fma_f16 v31, v101, v31, -v10
	s_waitcnt lgkmcnt(0)
	v_lshrrev_b32_e32 v6, 16, v9
	v_mul_f16_sdwa v19, v108, v9 dst_sel:DWORD dst_unused:UNUSED_PAD src0_sel:WORD_1 src1_sel:DWORD
	v_mul_f16_sdwa v20, v108, v6 dst_sel:DWORD dst_unused:UNUSED_PAD src0_sel:WORD_1 src1_sel:DWORD
	v_fma_f16 v19, v108, v6, -v19
	v_lshrrev_b32_e32 v6, 16, v8
	v_fmac_f16_e32 v20, v108, v9
	v_mul_f16_sdwa v21, v106, v6 dst_sel:DWORD dst_unused:UNUSED_PAD src0_sel:WORD_1 src1_sel:DWORD
	v_fmac_f16_e32 v21, v106, v8
	v_mul_f16_sdwa v8, v106, v8 dst_sel:DWORD dst_unused:UNUSED_PAD src0_sel:WORD_1 src1_sel:DWORD
	v_fma_f16 v22, v106, v6, -v8
	ds_read2_b32 v[8:9], v146 offset0:8 offset1:251
	s_waitcnt lgkmcnt(0)
	v_lshrrev_b32_e32 v6, 16, v9
	v_mul_f16_sdwa v23, v107, v9 dst_sel:DWORD dst_unused:UNUSED_PAD src0_sel:WORD_1 src1_sel:DWORD
	v_mul_f16_sdwa v24, v107, v6 dst_sel:DWORD dst_unused:UNUSED_PAD src0_sel:WORD_1 src1_sel:DWORD
	v_fma_f16 v23, v107, v6, -v23
	v_lshrrev_b32_e32 v6, 16, v8
	v_fmac_f16_e32 v24, v107, v9
	v_mul_f16_sdwa v25, v103, v6 dst_sel:DWORD dst_unused:UNUSED_PAD src0_sel:WORD_1 src1_sel:DWORD
	v_fmac_f16_e32 v25, v103, v8
	v_mul_f16_sdwa v8, v103, v8 dst_sel:DWORD dst_unused:UNUSED_PAD src0_sel:WORD_1 src1_sel:DWORD
	v_fma_f16 v26, v103, v6, -v8
	ds_read2_b32 v[8:9], v148 offset0:10 offset1:253
	s_waitcnt lgkmcnt(0)
	v_lshrrev_b32_e32 v6, 16, v9
	v_mul_f16_sdwa v27, v102, v9 dst_sel:DWORD dst_unused:UNUSED_PAD src0_sel:WORD_1 src1_sel:DWORD
	v_mul_f16_sdwa v28, v102, v6 dst_sel:DWORD dst_unused:UNUSED_PAD src0_sel:WORD_1 src1_sel:DWORD
	v_fma_f16 v27, v102, v6, -v27
	v_lshrrev_b32_e32 v6, 16, v4
	v_fmac_f16_e32 v28, v102, v9
	v_lshrrev_b32_e32 v9, 16, v8
	v_mul_f16_sdwa v29, v100, v6 dst_sel:DWORD dst_unused:UNUSED_PAD src0_sel:WORD_1 src1_sel:DWORD
	v_mul_f16_sdwa v30, v100, v9 dst_sel:DWORD dst_unused:UNUSED_PAD src0_sel:WORD_1 src1_sel:DWORD
	v_fmac_f16_e32 v29, v100, v4
	v_mul_f16_sdwa v4, v100, v4 dst_sel:DWORD dst_unused:UNUSED_PAD src0_sel:WORD_1 src1_sel:DWORD
	v_fmac_f16_e32 v30, v100, v8
	v_mul_f16_sdwa v8, v100, v8 dst_sel:DWORD dst_unused:UNUSED_PAD src0_sel:WORD_1 src1_sel:DWORD
	v_fma_f16 v33, v100, v6, -v4
	v_fma_f16 v34, v100, v9, -v8
	ds_read2_b32 v[8:9], v162 offset0:12 offset1:255
	s_waitcnt lgkmcnt(0)
	v_lshrrev_b32_e32 v4, 16, v8
	v_mul_f16_sdwa v6, v101, v8 dst_sel:DWORD dst_unused:UNUSED_PAD src0_sel:WORD_1 src1_sel:DWORD
	v_lshrrev_b32_e32 v10, 16, v9
	v_mul_f16_sdwa v36, v101, v4 dst_sel:DWORD dst_unused:UNUSED_PAD src0_sel:WORD_1 src1_sel:DWORD
	v_fma_f16 v35, v101, v4, -v6
	v_lshrrev_b32_e32 v4, 16, v5
	v_lshrrev_b32_e32 v6, 16, v7
	v_mul_f16_sdwa v38, v69, v10 dst_sel:DWORD dst_unused:UNUSED_PAD src0_sel:WORD_1 src1_sel:DWORD
	v_fmac_f16_e32 v36, v101, v8
	v_mul_f16_sdwa v8, v69, v4 dst_sel:DWORD dst_unused:UNUSED_PAD src0_sel:WORD_1 src1_sel:DWORD
	v_mul_f16_sdwa v37, v68, v6 dst_sel:DWORD dst_unused:UNUSED_PAD src0_sel:WORD_1 src1_sel:DWORD
	v_fmac_f16_e32 v38, v69, v9
	v_mul_f16_sdwa v9, v69, v9 dst_sel:DWORD dst_unused:UNUSED_PAD src0_sel:WORD_1 src1_sel:DWORD
	v_fmac_f16_e32 v8, v69, v5
	;; [unrolled: 2-line block ×3, first 2 shown]
	v_mul_f16_sdwa v7, v68, v7 dst_sel:DWORD dst_unused:UNUSED_PAD src0_sel:WORD_1 src1_sel:DWORD
	v_fma_f16 v41, v69, v10, -v9
	v_add_f16_e32 v10, v12, v14
	v_fma_f16 v39, v69, v4, -v5
	ds_read2_b32 v[4:5], v173 offset0:8 offset1:251
	v_fma_f16 v40, v68, v6, -v7
	s_waitcnt lgkmcnt(0)
	v_lshrrev_b32_e32 v6, 16, v5
	v_mul_f16_sdwa v7, v68, v5 dst_sel:DWORD dst_unused:UNUSED_PAD src0_sel:WORD_1 src1_sel:DWORD
	v_mul_f16_sdwa v9, v68, v6 dst_sel:DWORD dst_unused:UNUSED_PAD src0_sel:WORD_1 src1_sel:DWORD
	v_fma_f16 v7, v68, v6, -v7
	v_fmac_f16_e32 v9, v68, v5
	ds_read2_b32 v[5:6], v131 offset1:243
	v_add_f16_e32 v45, v7, v39
	s_waitcnt lgkmcnt(0)
	v_lshrrev_b32_e32 v42, 16, v6
	v_add_f16_e32 v43, v6, v12
	v_fmac_f16_e32 v6, -0.5, v10
	v_sub_f16_e32 v10, v11, v13
	v_fmamk_f16 v44, v10, 0xbaee, v6
	v_fmac_f16_e32 v6, 0x3aee, v10
	v_add_f16_e32 v10, v11, v13
	v_add_f16_e32 v11, v42, v11
	v_fmac_f16_e32 v42, -0.5, v10
	v_sub_f16_e32 v10, v12, v14
	v_add_f16_e32 v11, v11, v13
	v_fmamk_f16 v12, v10, 0x3aee, v42
	v_fmac_f16_e32 v42, 0xbaee, v10
	v_add_f16_e32 v10, v9, v8
	v_pack_b32_f16 v12, v44, v12
	v_pack_b32_f16 v42, v6, v42
	v_fma_f16 v10, -0.5, v10, v5
	v_lshrrev_b32_e32 v6, 16, v5
	v_add_f16_e32 v5, v5, v9
	v_add_f16_e32 v46, v6, v7
	v_fmac_f16_e32 v6, -0.5, v45
	v_add_f16_e32 v5, v5, v8
	v_sub_f16_e32 v8, v9, v8
	v_sub_f16_e32 v7, v7, v39
	v_fmamk_f16 v9, v7, 0xbaee, v10
	v_fmac_f16_e32 v10, 0x3aee, v7
	v_add_f16_e32 v7, v46, v39
	v_fmamk_f16 v39, v8, 0x3aee, v6
	v_fmac_f16_e32 v6, 0xbaee, v8
	v_add_f16_e32 v8, v43, v14
	v_pack_b32_f16 v14, v5, v7
	v_pack_b32_f16 v13, v9, v39
	;; [unrolled: 1-line block ×4, first 2 shown]
	ds_read2_b32 v[5:6], v160 offset0:6 offset1:249
	ds_read2_b32 v[7:8], v154 offset0:12 offset1:255
	;; [unrolled: 1-line block ×3, first 2 shown]
	s_waitcnt lgkmcnt(0)
	s_barrier
	buffer_gl0_inv
	ds_write_b32 v131, v13 offset:2916
	ds_write_b32 v131, v39 offset:5832
	ds_write2_b32 v131, v14, v11 offset1:243
	v_add_f16_e32 v13, v33, v35
	v_lshrrev_b32_e32 v11, 16, v5
	v_add_f16_e32 v14, v11, v33
	v_fmac_f16_e32 v11, -0.5, v13
	v_sub_f16_e32 v13, v33, v35
	v_add_f16_e32 v33, v5, v29
	v_add_f16_e32 v14, v14, v35
	;; [unrolled: 1-line block ×3, first 2 shown]
	v_sub_f16_e32 v29, v29, v36
	v_add_f16_e32 v33, v33, v36
	v_fma_f16 v5, -0.5, v35, v5
	v_fmamk_f16 v35, v29, 0x3aee, v11
	v_pack_b32_f16 v14, v33, v14
	v_fmac_f16_e32 v11, 0xbaee, v29
	v_fmamk_f16 v33, v13, 0xbaee, v5
	v_fmac_f16_e32 v5, 0x3aee, v13
	v_pack_b32_f16 v33, v33, v35
	ds_write_b32 v131, v42 offset:6804
	ds_write_b32 v131, v14 offset:1944
	ds_write2_b32 v154, v12, v33 offset0:12 offset1:255
	v_add_f16_e32 v12, v37, v38
	v_lshrrev_b32_e32 v14, 16, v6
	v_add_f16_e32 v33, v6, v37
	v_pack_b32_f16 v5, v5, v11
	v_fmac_f16_e32 v6, -0.5, v12
	v_add_f16_e32 v12, v40, v41
	v_add_f16_e32 v35, v14, v40
	v_fmac_f16_e32 v14, -0.5, v12
	v_sub_f16_e32 v12, v40, v41
	v_add_f16_e32 v13, v35, v41
	v_fmamk_f16 v36, v12, 0xbaee, v6
	v_fmac_f16_e32 v6, 0x3aee, v12
	v_sub_f16_e32 v12, v37, v38
	v_fmamk_f16 v37, v12, 0x3aee, v14
	v_fmac_f16_e32 v14, 0xbaee, v12
	v_add_f16_e32 v12, v33, v38
	v_pack_b32_f16 v6, v6, v14
	v_pack_b32_f16 v11, v12, v13
	v_add_f16_e32 v13, v16, v18
	v_sub_f16_e32 v14, v15, v17
	ds_write2_b32 v173, v5, v11 offset0:8 offset1:251
	v_lshrrev_b32_e32 v5, 16, v7
	v_add_f16_e32 v11, v15, v17
	v_fma_f16 v13, -0.5, v13, v7
	v_add_f16_e32 v7, v7, v16
	v_add_f16_e32 v12, v5, v15
	v_fmac_f16_e32 v5, -0.5, v11
	v_sub_f16_e32 v15, v16, v18
	v_fmamk_f16 v29, v14, 0xbaee, v13
	v_pack_b32_f16 v11, v36, v37
	v_add_f16_e32 v7, v7, v18
	v_fmac_f16_e32 v13, 0x3aee, v14
	v_fmamk_f16 v33, v15, 0x3aee, v5
	v_fmac_f16_e32 v5, 0xbaee, v15
	v_pack_b32_f16 v29, v29, v33
	v_pack_b32_f16 v5, v13, v5
	ds_write2_b32 v157, v11, v29 offset0:4 offset1:247
	v_add_f16_e32 v11, v12, v17
	v_lshrrev_b32_e32 v12, 16, v8
	v_pack_b32_f16 v7, v7, v11
	v_add_f16_e32 v11, v8, v30
	v_add_f16_e32 v16, v12, v34
	;; [unrolled: 1-line block ×4, first 2 shown]
	v_pack_b32_f16 v11, v11, v16
	ds_write2_b32 v166, v7, v11 offset0:6 offset1:249
	v_add_f16_e32 v7, v30, v32
	v_sub_f16_e32 v11, v34, v31
	v_fmac_f16_e32 v8, -0.5, v7
	v_add_f16_e32 v7, v34, v31
	v_fmamk_f16 v16, v11, 0xbaee, v8
	v_fmac_f16_e32 v12, -0.5, v7
	v_sub_f16_e32 v7, v30, v32
	v_fmac_f16_e32 v8, 0x3aee, v11
	v_sub_f16_e32 v11, v28, v25
	v_fmamk_f16 v17, v7, 0x3aee, v12
	v_fmac_f16_e32 v12, 0xbaee, v7
	v_pack_b32_f16 v16, v16, v17
	ds_write2_b32 v148, v16, v6 offset0:10 offset1:253
	v_pack_b32_f16 v6, v8, v12
	v_add_f16_e32 v8, v28, v25
	ds_write2_b32 v140, v5, v6 offset1:243
	v_lshrrev_b32_e32 v5, 16, v9
	v_add_f16_e32 v6, v27, v26
	v_fma_f16 v8, -0.5, v8, v9
	v_add_f16_e32 v7, v5, v27
	v_fmac_f16_e32 v5, -0.5, v6
	v_add_f16_e32 v6, v9, v28
	v_sub_f16_e32 v9, v27, v26
	v_add_f16_e32 v7, v7, v26
	v_add_f16_e32 v6, v6, v25
	v_fmamk_f16 v12, v9, 0xbaee, v8
	v_fmac_f16_e32 v8, 0x3aee, v9
	v_fmamk_f16 v9, v11, 0x3aee, v5
	v_fmac_f16_e32 v5, 0xbaee, v11
	v_pack_b32_f16 v6, v6, v7
	v_pack_b32_f16 v7, v12, v9
	;; [unrolled: 1-line block ×3, first 2 shown]
	ds_write_b32 v242, v6 offset:17496
	ds_write_b32 v242, v7 offset:20412
	;; [unrolled: 1-line block ×3, first 2 shown]
	v_add_f16_e32 v5, v21, v24
	v_lshrrev_b32_e32 v6, 16, v10
	v_add_f16_e32 v7, v10, v21
	v_add_f16_e32 v12, v4, v20
	v_fmac_f16_e32 v10, -0.5, v5
	v_add_f16_e32 v5, v22, v23
	v_add_f16_e32 v8, v6, v22
	v_fmac_f16_e32 v6, -0.5, v5
	v_sub_f16_e32 v5, v22, v23
	v_fmamk_f16 v9, v5, 0xbaee, v10
	v_fmac_f16_e32 v10, 0x3aee, v5
	v_sub_f16_e32 v5, v21, v24
	v_fmamk_f16 v11, v5, 0x3aee, v6
	v_fmac_f16_e32 v6, 0xbaee, v5
	v_pack_b32_f16 v5, v10, v6
	v_add_f16_e32 v6, v20, v2
	v_lshrrev_b32_e32 v10, 16, v4
	v_fmac_f16_e32 v4, -0.5, v6
	v_add_f16_e32 v6, v19, v3
	v_add_f16_e32 v13, v10, v19
	v_fmac_f16_e32 v10, -0.5, v6
	v_sub_f16_e32 v6, v19, v3
	v_add_f16_e32 v3, v13, v3
	v_fmamk_f16 v14, v6, 0xbaee, v4
	v_fmac_f16_e32 v4, 0x3aee, v6
	v_sub_f16_e32 v6, v20, v2
	v_add_f16_e32 v2, v12, v2
	v_fmamk_f16 v15, v6, 0x3aee, v10
	v_fmac_f16_e32 v10, 0xbaee, v6
	v_add_f16_e32 v6, v7, v24
	v_add_f16_e32 v7, v8, v23
	v_pack_b32_f16 v2, v2, v3
	v_pack_b32_f16 v3, v14, v15
	;; [unrolled: 1-line block ×5, first 2 shown]
	ds_write_b32 v241, v6 offset:17496
	ds_write_b32 v241, v7 offset:20412
	;; [unrolled: 1-line block ×6, first 2 shown]
	s_waitcnt lgkmcnt(0)
	s_barrier
	buffer_gl0_inv
	ds_read_b32 v3, v131 offset:25272
	ds_read2_b32 v[7:8], v140 offset1:243
	ds_read2_b32 v[9:10], v146 offset0:8 offset1:251
	s_waitcnt lgkmcnt(2)
	v_lshrrev_b32_e32 v4, 16, v3
	s_waitcnt lgkmcnt(1)
	v_mul_f16_sdwa v5, v120, v8 dst_sel:DWORD dst_unused:UNUSED_PAD src0_sel:WORD_1 src1_sel:DWORD
	v_mul_f16_sdwa v2, v121, v4 dst_sel:DWORD dst_unused:UNUSED_PAD src0_sel:WORD_1 src1_sel:DWORD
	v_fmac_f16_e32 v2, v121, v3
	v_mul_f16_sdwa v3, v121, v3 dst_sel:DWORD dst_unused:UNUSED_PAD src0_sel:WORD_1 src1_sel:DWORD
	v_fma_f16 v3, v121, v4, -v3
	v_lshrrev_b32_e32 v4, 16, v8
	v_fma_f16 v6, v120, v4, -v5
	v_lshrrev_b32_e32 v5, 16, v7
	v_mul_f16_sdwa v4, v120, v4 dst_sel:DWORD dst_unused:UNUSED_PAD src0_sel:WORD_1 src1_sel:DWORD
	v_mul_f16_sdwa v17, v118, v5 dst_sel:DWORD dst_unused:UNUSED_PAD src0_sel:WORD_1 src1_sel:DWORD
	v_fmac_f16_e32 v4, v120, v8
	v_fmac_f16_e32 v17, v118, v7
	v_mul_f16_sdwa v7, v118, v7 dst_sel:DWORD dst_unused:UNUSED_PAD src0_sel:WORD_1 src1_sel:DWORD
	v_fma_f16 v18, v118, v5, -v7
	s_waitcnt lgkmcnt(0)
	v_lshrrev_b32_e32 v7, 16, v10
	v_mul_f16_sdwa v5, v119, v10 dst_sel:DWORD dst_unused:UNUSED_PAD src0_sel:WORD_1 src1_sel:DWORD
	v_fma_f16 v5, v119, v7, -v5
	v_mul_f16_sdwa v7, v119, v7 dst_sel:DWORD dst_unused:UNUSED_PAD src0_sel:WORD_1 src1_sel:DWORD
	v_fmac_f16_e32 v7, v119, v10
	v_lshrrev_b32_e32 v10, 16, v9
	v_mul_f16_sdwa v8, v117, v10 dst_sel:DWORD dst_unused:UNUSED_PAD src0_sel:WORD_1 src1_sel:DWORD
	v_fmac_f16_e32 v8, v117, v9
	v_mul_f16_sdwa v9, v117, v9 dst_sel:DWORD dst_unused:UNUSED_PAD src0_sel:WORD_1 src1_sel:DWORD
	v_fma_f16 v9, v117, v10, -v9
	ds_read2_b32 v[10:11], v148 offset0:10 offset1:253
	s_waitcnt lgkmcnt(0)
	v_lshrrev_b32_e32 v12, 16, v11
	v_mul_f16_sdwa v13, v116, v11 dst_sel:DWORD dst_unused:UNUSED_PAD src0_sel:WORD_1 src1_sel:DWORD
	v_mul_f16_sdwa v20, v116, v12 dst_sel:DWORD dst_unused:UNUSED_PAD src0_sel:WORD_1 src1_sel:DWORD
	v_fma_f16 v19, v116, v12, -v13
	v_fmac_f16_e32 v20, v116, v11
	v_lshrrev_b32_e32 v11, 16, v10
	v_mul_f16_sdwa v21, v114, v11 dst_sel:DWORD dst_unused:UNUSED_PAD src0_sel:WORD_1 src1_sel:DWORD
	v_fmac_f16_e32 v21, v114, v10
	v_mul_f16_sdwa v10, v114, v10 dst_sel:DWORD dst_unused:UNUSED_PAD src0_sel:WORD_1 src1_sel:DWORD
	v_fma_f16 v22, v114, v11, -v10
	ds_read2_b32 v[10:11], v153 offset0:2 offset1:245
	s_waitcnt lgkmcnt(0)
	v_lshrrev_b32_e32 v12, 16, v11
	v_mul_f16_sdwa v13, v115, v11 dst_sel:DWORD dst_unused:UNUSED_PAD src0_sel:WORD_1 src1_sel:DWORD
	v_mul_f16_sdwa v24, v115, v12 dst_sel:DWORD dst_unused:UNUSED_PAD src0_sel:WORD_1 src1_sel:DWORD
	v_fma_f16 v23, v115, v12, -v13
	;; [unrolled: 12-line block ×6, first 2 shown]
	v_fmac_f16_e32 v16, v77, v11
	v_lshrrev_b32_e32 v11, 16, v10
	v_add_f16_e32 v41, v13, v16
	v_mul_f16_sdwa v37, v73, v11 dst_sel:DWORD dst_unused:UNUSED_PAD src0_sel:WORD_1 src1_sel:DWORD
	v_fmac_f16_e32 v37, v73, v10
	v_mul_f16_sdwa v10, v73, v10 dst_sel:DWORD dst_unused:UNUSED_PAD src0_sel:WORD_1 src1_sel:DWORD
	v_fma_f16 v38, v73, v11, -v10
	ds_read2_b32 v[10:11], v173 offset0:8 offset1:251
	s_waitcnt lgkmcnt(0)
	v_lshrrev_b32_e32 v12, 16, v11
	v_mul_f16_sdwa v39, v72, v11 dst_sel:DWORD dst_unused:UNUSED_PAD src0_sel:WORD_1 src1_sel:DWORD
	v_mul_f16_sdwa v40, v72, v12 dst_sel:DWORD dst_unused:UNUSED_PAD src0_sel:WORD_1 src1_sel:DWORD
	v_fma_f16 v39, v72, v12, -v39
	v_fmac_f16_e32 v40, v72, v11
	ds_read2_b32 v[11:12], v131 offset1:243
	s_waitcnt lgkmcnt(0)
	v_lshrrev_b32_e32 v42, 16, v12
	v_add_f16_e32 v43, v12, v13
	v_fmac_f16_e32 v12, -0.5, v41
	v_add_f16_e32 v41, v14, v15
	v_sub_f16_e32 v13, v13, v16
	v_add_f16_e32 v44, v42, v14
	v_sub_f16_e32 v14, v14, v15
	v_add_f16_e32 v16, v43, v16
	v_fmac_f16_e32 v42, -0.5, v41
	v_add_f16_e32 v15, v44, v15
	v_fmamk_f16 v41, v14, 0xbaee, v12
	v_fmac_f16_e32 v12, 0x3aee, v14
	v_fmamk_f16 v45, v13, 0x3aee, v42
	v_fmac_f16_e32 v42, 0xbaee, v13
	v_add_f16_e32 v13, v40, v37
	v_add_f16_e32 v14, v39, v38
	;; [unrolled: 1-line block ×3, first 2 shown]
	v_pack_b32_f16 v42, v12, v42
	v_fma_f16 v13, -0.5, v13, v11
	v_lshrrev_b32_e32 v12, 16, v11
	v_add_f16_e32 v11, v11, v40
	v_add_f16_e32 v46, v12, v39
	v_fmac_f16_e32 v12, -0.5, v14
	v_add_f16_e32 v11, v11, v37
	v_sub_f16_e32 v14, v40, v37
	v_sub_f16_e32 v37, v39, v38
	v_fmamk_f16 v39, v37, 0xbaee, v13
	v_fmac_f16_e32 v13, 0x3aee, v37
	v_fmamk_f16 v37, v14, 0x3aee, v12
	v_fmac_f16_e32 v12, 0xbaee, v14
	v_add_f16_e32 v14, v46, v38
	v_pack_b32_f16 v37, v39, v37
	v_pack_b32_f16 v12, v13, v12
	;; [unrolled: 1-line block ×3, first 2 shown]
	ds_write_b32 v131, v37 offset:8748
	ds_write_b32 v131, v12 offset:17496
	v_pack_b32_f16 v37, v16, v15
	ds_read2_b32 v[11:12], v160 offset0:6 offset1:249
	ds_read2_b32 v[13:14], v154 offset0:12 offset1:255
	;; [unrolled: 1-line block ×3, first 2 shown]
	ds_write2_b32 v131, v38, v37 offset1:243
	v_add_f16_e32 v38, v35, v34
	s_waitcnt lgkmcnt(3)
	v_lshrrev_b32_e32 v37, 16, v11
	v_add_f16_e32 v39, v37, v35
	v_fmac_f16_e32 v37, -0.5, v38
	v_add_f16_e32 v38, v36, v33
	v_sub_f16_e32 v35, v35, v34
	v_fma_f16 v38, -0.5, v38, v11
	v_add_f16_e32 v11, v11, v36
	v_fmamk_f16 v40, v35, 0xbaee, v38
	v_fmac_f16_e32 v38, 0x3aee, v35
	v_sub_f16_e32 v35, v36, v33
	v_add_f16_e32 v11, v11, v33
	v_fmamk_f16 v43, v35, 0x3aee, v37
	v_fmac_f16_e32 v37, 0xbaee, v35
	v_pack_b32_f16 v35, v38, v37
	v_lshrrev_b32_e32 v37, 16, v12
	v_add_f16_e32 v38, v12, v29
	ds_write2_b32 v169, v42, v35 offset0:9 offset1:252
	v_add_f16_e32 v35, v29, v32
	v_add_f16_e32 v42, v37, v30
	v_fmac_f16_e32 v12, -0.5, v35
	v_add_f16_e32 v35, v30, v31
	v_sub_f16_e32 v30, v30, v31
	v_fmac_f16_e32 v37, -0.5, v35
	v_fmamk_f16 v35, v30, 0xbaee, v12
	v_fmac_f16_e32 v12, 0x3aee, v30
	s_waitcnt lgkmcnt(3)
	v_lshrrev_b32_e32 v30, 16, v13
	v_add_f16_e32 v46, v30, v27
	v_fmac_f16_e32 v30, -0.5, v44
	v_add_f16_e32 v44, v28, v25
	v_sub_f16_e32 v27, v27, v26
	v_fma_f16 v44, -0.5, v44, v13
	v_fmamk_f16 v47, v27, 0xbaee, v44
	v_fmac_f16_e32 v44, 0x3aee, v27
	v_sub_f16_e32 v27, v28, v25
	v_fmamk_f16 v48, v27, 0x3aee, v30
	v_fmac_f16_e32 v30, 0xbaee, v27
	v_sub_f16_e32 v27, v29, v32
	v_fmamk_f16 v29, v27, 0x3aee, v37
	v_fmac_f16_e32 v37, 0xbaee, v27
	v_pack_b32_f16 v27, v44, v30
	v_add_f16_e32 v30, v14, v21
	v_add_f16_e32 v44, v19, v9
	v_pack_b32_f16 v12, v12, v37
	ds_write2_b32 v170, v12, v27 offset0:7 offset1:250
	v_add_f16_e32 v12, v21, v24
	v_lshrrev_b32_e32 v27, 16, v14
	v_fmac_f16_e32 v14, -0.5, v12
	v_add_f16_e32 v12, v22, v23
	v_add_f16_e32 v37, v27, v22
	v_fmac_f16_e32 v27, -0.5, v12
	v_sub_f16_e32 v12, v22, v23
	v_fmamk_f16 v22, v12, 0xbaee, v14
	v_fmac_f16_e32 v14, 0x3aee, v12
	s_waitcnt lgkmcnt(3)
	v_lshrrev_b32_e32 v12, 16, v15
	v_add_f16_e32 v49, v12, v19
	v_fmac_f16_e32 v12, -0.5, v44
	v_add_f16_e32 v44, v20, v8
	v_sub_f16_e32 v19, v19, v9
	v_add_f16_e32 v9, v49, v9
	v_fma_f16 v44, -0.5, v44, v15
	v_fmamk_f16 v50, v19, 0xbaee, v44
	v_fmac_f16_e32 v44, 0x3aee, v19
	v_sub_f16_e32 v19, v20, v8
	v_fmamk_f16 v51, v19, 0x3aee, v12
	v_fmac_f16_e32 v12, 0xbaee, v19
	v_sub_f16_e32 v19, v21, v24
	v_pack_b32_f16 v12, v44, v12
	v_fmamk_f16 v21, v19, 0x3aee, v27
	v_fmac_f16_e32 v27, 0xbaee, v19
	v_add_f16_e32 v19, v42, v31
	v_pack_b32_f16 v14, v14, v27
	ds_write2_b32 v171, v14, v12 offset0:5 offset1:248
	v_add_f16_e32 v12, v13, v28
	v_pack_b32_f16 v13, v41, v45
	v_pack_b32_f16 v14, v40, v43
	ds_write2_b32 v166, v13, v14 offset0:6 offset1:249
	v_add_f16_e32 v13, v39, v34
	v_add_f16_e32 v14, v38, v32
	v_pack_b32_f16 v11, v11, v13
	v_pack_b32_f16 v13, v14, v19
	v_add_f16_e32 v14, v37, v23
	v_add_f16_e32 v19, v10, v4
	ds_write2_b32 v160, v11, v13 offset0:6 offset1:249
	v_pack_b32_f16 v11, v35, v29
	v_pack_b32_f16 v13, v47, v48
	ds_write2_b32 v157, v11, v13 offset0:4 offset1:247
	v_add_f16_e32 v11, v12, v25
	v_add_f16_e32 v12, v46, v26
	;; [unrolled: 1-line block ×3, first 2 shown]
	v_pack_b32_f16 v11, v11, v12
	v_pack_b32_f16 v12, v13, v14
	v_add_f16_e32 v13, v16, v17
	ds_write2_b32 v154, v11, v12 offset0:12 offset1:255
	v_add_f16_e32 v11, v17, v7
	v_lshrrev_b32_e32 v12, 16, v16
	v_fmac_f16_e32 v16, -0.5, v11
	v_add_f16_e32 v11, v18, v5
	v_add_f16_e32 v14, v12, v18
	v_fmac_f16_e32 v12, -0.5, v11
	v_sub_f16_e32 v11, v18, v5
	v_add_f16_e32 v5, v14, v5
	v_fmamk_f16 v18, v11, 0xbaee, v16
	v_fmac_f16_e32 v16, 0x3aee, v11
	v_sub_f16_e32 v11, v17, v7
	v_add_f16_e32 v7, v13, v7
	v_fmamk_f16 v17, v11, 0x3aee, v12
	v_fmac_f16_e32 v12, 0xbaee, v11
	v_add_f16_e32 v11, v15, v20
	v_add_f16_e32 v15, v4, v2
	v_sub_f16_e32 v4, v4, v2
	v_add_f16_e32 v2, v19, v2
	v_pack_b32_f16 v12, v16, v12
	v_lshrrev_b32_e32 v16, 16, v10
	v_fmac_f16_e32 v10, -0.5, v15
	v_add_f16_e32 v15, v6, v3
	v_add_f16_e32 v8, v11, v8
	v_pack_b32_f16 v11, v50, v51
	v_add_f16_e32 v20, v16, v6
	v_sub_f16_e32 v6, v6, v3
	v_fmac_f16_e32 v16, -0.5, v15
	v_pack_b32_f16 v8, v8, v9
	v_pack_b32_f16 v5, v7, v5
	v_add_f16_e32 v3, v20, v3
	v_fmamk_f16 v15, v6, 0xbaee, v10
	v_fmac_f16_e32 v10, 0x3aee, v6
	v_fmamk_f16 v6, v4, 0x3aee, v16
	v_fmac_f16_e32 v16, 0xbaee, v4
	v_pack_b32_f16 v2, v2, v3
	v_pack_b32_f16 v7, v18, v17
	;; [unrolled: 1-line block ×5, first 2 shown]
	ds_write2_b32 v148, v10, v11 offset0:10 offset1:253
	ds_write2_b32 v145, v8, v5 offset0:2 offset1:245
	ds_write_b32 v131, v2 offset:7776
	ds_write2_b32 v140, v7, v3 offset1:243
	ds_write2_b32 v174, v12, v4 offset0:11 offset1:254
	s_waitcnt lgkmcnt(0)
	s_barrier
	buffer_gl0_inv
	ds_read2_b32 v[6:7], v131 offset1:243
	v_mad_u64_u32 v[8:9], null, s14, v1, 0
	s_mul_i32 s14, s12, 0x222c
	s_waitcnt lgkmcnt(0)
	v_lshrrev_b32_e32 v5, 16, v6
	v_mul_f16_sdwa v2, v168, v5 dst_sel:DWORD dst_unused:UNUSED_PAD src0_sel:WORD_1 src1_sel:DWORD
	v_fmac_f16_e32 v2, v168, v6
	v_cvt_f32_f16_e32 v2, v2
	v_cvt_f64_f32_e32 v[2:3], v2
	v_mul_f64 v[3:4], v[2:3], s[16:17]
	v_mul_f16_sdwa v2, v168, v6 dst_sel:DWORD dst_unused:UNUSED_PAD src0_sel:WORD_1 src1_sel:DWORD
	v_fma_f16 v10, v168, v5, -v2
	v_mov_b32_e32 v5, v9
	v_and_or_b32 v6, 0x1ff, v4, v3
	v_mad_u64_u32 v[2:3], null, s12, v0, 0
	v_bfe_u32 v15, v4, 20, 11
	v_cmp_ne_u32_e32 vcc_lo, 0, v6
	v_mad_u64_u32 v[5:6], null, s15, v1, v[5:6]
	v_mov_b32_e32 v1, v3
	v_cvt_f32_f16_e32 v3, v10
	v_mad_u64_u32 v[0:1], null, s13, v0, v[1:2]
	v_cvt_f64_f32_e32 v[10:11], v3
	v_mov_b32_e32 v9, v5
	v_mov_b32_e32 v3, v0
	v_lshlrev_b64 v[0:1], 2, v[8:9]
	v_sub_nc_u32_e32 v9, 0x3f1, v15
	v_lshlrev_b64 v[2:3], 2, v[2:3]
	v_mul_f64 v[5:6], v[10:11], s[16:17]
	v_cndmask_b32_e64 v10, 0, 1, vcc_lo
	v_lshrrev_b32_e32 v11, 8, v4
	v_add_co_u32 v0, vcc_lo, s0, v0
	v_add_co_ci_u32_e32 v1, vcc_lo, s1, v1, vcc_lo
	v_and_or_b32 v8, 0xffe, v11, v10
	v_add_co_u32 v2, vcc_lo, v0, v2
	v_add_co_ci_u32_e32 v3, vcc_lo, v1, v3, vcc_lo
	v_or_b32_e32 v0, 0x1000, v8
	v_med3_i32 v1, v9, 0, 13
	v_lshrrev_b32_e32 v4, 16, v4
	v_lshrrev_b32_e32 v17, v1, v0
	v_and_or_b32 v5, 0x1ff, v6, v5
	v_lshlrev_b32_e32 v1, v1, v17
	v_bfe_u32 v16, v6, 20, 11
	v_cmp_ne_u32_e32 vcc_lo, 0, v5
	v_cndmask_b32_e64 v5, 0, 1, vcc_lo
	v_cmp_ne_u32_e32 vcc_lo, v1, v0
	v_lshrrev_b32_e32 v0, 8, v6
	v_lshrrev_b32_e32 v6, 16, v6
	v_and_or_b32 v5, 0xffe, v0, v5
	v_sub_nc_u32_e32 v0, 0x3f1, v16
	v_add_nc_u32_e32 v16, 0xfffffc10, v16
	v_or_b32_e32 v1, 0x1000, v5
	v_med3_i32 v0, v0, 0, 13
	v_lshrrev_b32_e32 v18, v0, v1
	v_lshlrev_b32_e32 v0, v0, v18
	v_cmp_ne_u32_e64 s0, v0, v1
	ds_read2_b32 v[0:1], v173 offset0:8 offset1:251
	s_waitcnt lgkmcnt(0)
	v_lshrrev_b32_e32 v9, 16, v1
	v_mul_f16_sdwa v10, v165, v1 dst_sel:DWORD dst_unused:UNUSED_PAD src0_sel:WORD_1 src1_sel:DWORD
	v_fma_f16 v11, v165, v9, -v10
	v_mul_f16_sdwa v9, v165, v9 dst_sel:DWORD dst_unused:UNUSED_PAD src0_sel:WORD_1 src1_sel:DWORD
	v_fmac_f16_e32 v9, v165, v1
	v_cvt_f32_f16_e32 v1, v9
	v_cvt_f64_f32_e32 v[9:10], v1
	v_mul_f64 v[27:28], v[9:10], s[16:17]
	v_and_or_b32 v1, 0x1ff, v28, v27
	v_lshrrev_b32_e32 v9, 8, v28
	v_bfe_u32 v32, v28, 20, 11
	v_cmp_ne_u32_e64 s1, 0, v1
	v_cndmask_b32_e64 v1, 0, 1, s1
	v_and_or_b32 v31, 0xffe, v9, v1
	v_sub_nc_u32_e32 v1, 0x3f1, v32
	v_or_b32_e32 v9, 0x1000, v31
	v_med3_i32 v1, v1, 0, 13
	v_lshrrev_b32_e32 v33, v1, v9
	v_lshlrev_b32_e32 v1, v1, v33
	v_cmp_ne_u32_e64 s5, v1, v9
	v_cvt_f32_f16_e32 v1, v11
	v_cvt_f64_f32_e32 v[9:10], v1
	v_mul_f64 v[29:30], v[9:10], s[16:17]
	v_and_or_b32 v1, 0x1ff, v30, v29
	v_lshrrev_b32_e32 v9, 8, v30
	v_bfe_u32 v34, v30, 20, 11
	v_cmp_ne_u32_e64 s1, 0, v1
	v_cndmask_b32_e64 v1, 0, 1, s1
	v_and_or_b32 v29, 0xffe, v9, v1
	v_sub_nc_u32_e32 v1, 0x3f1, v34
	v_or_b32_e32 v9, 0x1000, v29
	v_med3_i32 v1, v1, 0, 13
	v_lshrrev_b32_e32 v35, v1, v9
	v_lshlrev_b32_e32 v1, v1, v35
	v_cmp_ne_u32_e64 s6, v1, v9
	ds_read2_b32 v[9:10], v172 offset0:6 offset1:249
	s_waitcnt lgkmcnt(0)
	v_lshrrev_b32_e32 v1, 16, v9
	v_mul_f16_sdwa v11, v164, v9 dst_sel:DWORD dst_unused:UNUSED_PAD src0_sel:WORD_1 src1_sel:DWORD
	v_fma_f16 v13, v164, v1, -v11
	v_mul_f16_sdwa v1, v164, v1 dst_sel:DWORD dst_unused:UNUSED_PAD src0_sel:WORD_1 src1_sel:DWORD
	v_fmac_f16_e32 v1, v164, v9
	v_cvt_f32_f16_e32 v1, v1
	v_cvt_f64_f32_e32 v[11:12], v1
	v_mul_f64 v[11:12], v[11:12], s[16:17]
	v_and_or_b32 v1, 0x1ff, v12, v11
	v_lshrrev_b32_e32 v9, 8, v12
	v_bfe_u32 v20, v12, 20, 11
	v_cmp_ne_u32_e64 s1, 0, v1
	v_cndmask_b32_e64 v1, 0, 1, s1
	v_and_or_b32 v11, 0xffe, v9, v1
	v_sub_nc_u32_e32 v1, 0x3f1, v20
	v_or_b32_e32 v9, 0x1000, v11
	v_med3_i32 v1, v1, 0, 13
	v_lshrrev_b32_e32 v24, v1, v9
	v_lshlrev_b32_e32 v1, v1, v24
	v_cmp_ne_u32_e64 s2, v1, v9
	v_lshrrev_b32_e32 v1, 16, v7
	v_mul_f16_sdwa v9, v167, v1 dst_sel:DWORD dst_unused:UNUSED_PAD src0_sel:WORD_1 src1_sel:DWORD
	v_fmac_f16_e32 v9, v167, v7
	v_mul_f16_sdwa v7, v167, v7 dst_sel:DWORD dst_unused:UNUSED_PAD src0_sel:WORD_1 src1_sel:DWORD
	v_fma_f16 v7, v167, v1, -v7
	v_cvt_f32_f16_e32 v1, v13
	v_cvt_f64_f32_e32 v[13:14], v1
	v_mul_f64 v[13:14], v[13:14], s[16:17]
	v_and_or_b32 v1, 0x1ff, v14, v13
	v_lshrrev_b32_e32 v13, 8, v14
	v_bfe_u32 v26, v14, 20, 11
	v_cmp_ne_u32_e64 s1, 0, v1
	v_cndmask_b32_e64 v1, 0, 1, s1
	v_cmp_ne_u32_e64 s1, 0, v8
	v_and_or_b32 v22, 0xffe, v13, v1
	v_sub_nc_u32_e32 v1, 0x3f1, v26
	v_or_b32_e32 v13, 0x1000, v22
	v_med3_i32 v1, v1, 0, 13
	v_lshrrev_b32_e32 v27, v1, v13
	v_lshlrev_b32_e32 v1, v1, v27
	v_cmp_ne_u32_e64 s4, v1, v13
	v_cndmask_b32_e64 v1, 0, 1, vcc_lo
	v_add_nc_u32_e32 v13, 0xfffffc10, v15
	v_or_b32_e32 v1, v17, v1
	v_cmp_gt_i32_e32 vcc_lo, 1, v13
	v_lshl_or_b32 v15, v13, 12, v8
	v_lshl_or_b32 v17, v16, 12, v5
	v_cmp_gt_i32_e64 s8, 31, v13
	v_cmp_eq_u32_e64 s9, 0x40f, v13
	v_cndmask_b32_e32 v1, v15, v1, vcc_lo
	v_cndmask_b32_e64 v15, 0, 1, s0
	v_cmp_gt_i32_e32 vcc_lo, 1, v16
	v_or_b32_e32 v15, v18, v15
	v_cndmask_b32_e32 v15, v17, v15, vcc_lo
	v_and_b32_e32 v17, 7, v1
	v_lshrrev_b32_e32 v1, 2, v1
	v_and_b32_e32 v8, 7, v15
	v_cmp_lt_i32_e32 vcc_lo, 5, v17
	v_cmp_eq_u32_e64 s0, 3, v17
	v_cmp_lt_i32_e64 s3, 5, v8
	v_cmp_eq_u32_e64 s7, 3, v8
	s_or_b32 vcc_lo, s0, vcc_lo
	v_cndmask_b32_e64 v8, 0, 1, s1
	v_add_co_ci_u32_e32 v1, vcc_lo, 0, v1, vcc_lo
	v_cmp_ne_u32_e32 vcc_lo, 0, v5
	v_lshrrev_b32_e32 v5, 2, v15
	v_lshl_or_b32 v8, v8, 9, 0x7c00
	v_cndmask_b32_e64 v1, 0x7c00, v1, s8
	s_or_b32 s3, s7, s3
	v_cmp_gt_i32_e64 s0, 31, v16
	v_add_co_ci_u32_e64 v5, s3, 0, v5, s3
	v_cndmask_b32_e64 v1, v1, v8, s9
	v_cndmask_b32_e64 v8, 0, 1, vcc_lo
	v_cmp_eq_u32_e64 s1, 0x40f, v16
	v_cndmask_b32_e64 v5, 0x7c00, v5, s0
	s_mul_i32 s0, s13, 0x222c
	v_and_or_b32 v1, 0x8000, v4, v1
	v_lshl_or_b32 v8, v8, 9, 0x7c00
	s_add_i32 s11, s11, s0
	v_and_b32_e32 v1, 0xffff, v1
	v_cndmask_b32_e64 v5, v5, v8, s1
	v_and_or_b32 v4, 0x8000, v6, v5
	v_lshl_or_b32 v1, v4, 16, v1
	global_store_dword v[2:3], v1, off
	v_cvt_f32_f16_e32 v1, v9
	v_add_co_u32 v2, vcc_lo, v2, s14
	v_add_co_ci_u32_e32 v3, vcc_lo, s11, v3, vcc_lo
	v_cvt_f64_f32_e32 v[4:5], v1
	v_mul_f64 v[8:9], v[4:5], s[16:17]
	v_and_or_b32 v1, 0x1ff, v9, v8
	v_lshrrev_b32_e32 v4, 8, v9
	v_bfe_u32 v19, v9, 20, 11
	v_add_nc_u32_e32 v8, 0xfffffc10, v34
	v_cmp_ne_u32_e32 vcc_lo, 0, v1
	v_lshl_or_b32 v13, v8, 12, v29
	v_cndmask_b32_e64 v1, 0, 1, vcc_lo
	v_and_or_b32 v1, 0xffe, v4, v1
	v_sub_nc_u32_e32 v4, 0x3f1, v19
	v_add_nc_u32_e32 v19, 0xfffffc10, v19
	v_or_b32_e32 v5, 0x1000, v1
	v_med3_i32 v4, v4, 0, 13
	v_cmp_gt_i32_e64 s9, 31, v19
	v_cmp_eq_u32_e64 s10, 0x40f, v19
	v_lshrrev_b32_e32 v23, v4, v5
	v_lshlrev_b32_e32 v4, v4, v23
	v_cmp_ne_u32_e64 s1, v4, v5
	v_cvt_f32_f16_e32 v4, v7
	v_cvt_f64_f32_e32 v[4:5], v4
	v_mul_f64 v[5:6], v[4:5], s[16:17]
	v_and_or_b32 v4, 0x1ff, v6, v5
	v_lshrrev_b32_e32 v5, 8, v6
	v_bfe_u32 v21, v6, 20, 11
	v_lshrrev_b32_e32 v6, 16, v6
	v_cmp_ne_u32_e32 vcc_lo, 0, v4
	v_cndmask_b32_e64 v4, 0, 1, vcc_lo
	v_and_or_b32 v17, 0xffe, v5, v4
	v_sub_nc_u32_e32 v4, 0x3f1, v21
	v_add_nc_u32_e32 v21, 0xfffffc10, v21
	v_or_b32_e32 v5, 0x1000, v17
	v_med3_i32 v4, v4, 0, 13
	v_cmp_ne_u32_e64 s8, 0, v17
	v_lshrrev_b32_e32 v25, v4, v5
	v_lshlrev_b32_e32 v4, v4, v25
	v_cmp_ne_u32_e64 s3, v4, v5
	v_cndmask_b32_e64 v4, 0, 1, s5
	v_add_nc_u32_e32 v5, 0xfffffc10, v32
	v_cmp_ne_u32_e64 s5, 0, v31
	v_or_b32_e32 v4, v33, v4
	v_cmp_gt_i32_e32 vcc_lo, 1, v5
	v_lshl_or_b32 v7, v5, 12, v31
	v_cmp_eq_u32_e64 s7, 0x40f, v5
	v_cndmask_b32_e32 v4, v7, v4, vcc_lo
	v_and_b32_e32 v7, 7, v4
	v_lshrrev_b32_e32 v4, 2, v4
	v_cmp_lt_i32_e32 vcc_lo, 5, v7
	v_cmp_eq_u32_e64 s0, 3, v7
	v_cndmask_b32_e64 v7, 0, 1, s6
	v_cmp_gt_i32_e64 s6, 1, v8
	s_or_b32 vcc_lo, s0, vcc_lo
	v_or_b32_e32 v7, v35, v7
	v_add_co_ci_u32_e32 v4, vcc_lo, 0, v4, vcc_lo
	v_cndmask_b32_e64 v7, v13, v7, s6
	v_cmp_gt_i32_e64 s6, 31, v5
	v_cndmask_b32_e64 v5, 0, 1, s5
	v_cmp_ne_u32_e64 s5, 0, v29
	v_and_b32_e32 v13, 7, v7
	v_cndmask_b32_e64 v4, 0x7c00, v4, s6
	v_lshl_or_b32 v5, v5, 9, 0x7c00
	v_lshrrev_b32_e32 v7, 2, v7
	v_cmp_gt_i32_e64 s6, 31, v8
	v_cmp_lt_i32_e32 vcc_lo, 5, v13
	v_cmp_eq_u32_e64 s0, 3, v13
	v_cndmask_b32_e64 v4, v4, v5, s7
	v_cmp_eq_u32_e64 s7, 0x40f, v8
	v_cndmask_b32_e64 v8, 0, 1, s5
	v_lshrrev_b32_e32 v5, 16, v28
	s_or_b32 vcc_lo, s0, vcc_lo
	v_cmp_ne_u32_e64 s5, 0, v11
	v_add_co_ci_u32_e32 v7, vcc_lo, 0, v7, vcc_lo
	v_lshl_or_b32 v8, v8, 9, 0x7c00
	v_and_or_b32 v4, 0x8000, v5, v4
	v_cndmask_b32_e64 v7, 0x7c00, v7, s6
	v_and_b32_e32 v4, 0xffff, v4
	v_cndmask_b32_e64 v7, v7, v8, s7
	v_lshrrev_b32_e32 v8, 16, v30
	v_cmp_ne_u32_e64 s7, 0, v1
	v_and_or_b32 v5, 0x8000, v8, v7
	ds_read2_b32 v[7:8], v166 offset0:6 offset1:249
	v_lshl_or_b32 v4, v5, 16, v4
	global_store_dword v[2:3], v4, off
	v_add_co_u32 v4, vcc_lo, v2, s14
	v_add_co_ci_u32_e32 v5, vcc_lo, s11, v3, vcc_lo
	s_waitcnt lgkmcnt(0)
	v_lshrrev_b32_e32 v2, 16, v7
	v_mul_f16_sdwa v3, v163, v7 dst_sel:DWORD dst_unused:UNUSED_PAD src0_sel:WORD_1 src1_sel:DWORD
	v_fma_f16 v18, v163, v2, -v3
	v_mul_f16_sdwa v2, v163, v2 dst_sel:DWORD dst_unused:UNUSED_PAD src0_sel:WORD_1 src1_sel:DWORD
	v_fmac_f16_e32 v2, v163, v7
	v_cvt_f32_f16_e32 v2, v2
	v_cvt_f64_f32_e32 v[2:3], v2
	v_mul_f64 v[2:3], v[2:3], s[16:17]
	v_and_or_b32 v2, 0x1ff, v3, v2
	v_lshrrev_b32_e32 v7, 8, v3
	v_bfe_u32 v15, v3, 20, 11
	v_lshrrev_b32_e32 v3, 16, v3
	v_cmp_ne_u32_e32 vcc_lo, 0, v2
	v_cndmask_b32_e64 v2, 0, 1, vcc_lo
	v_and_or_b32 v13, 0xffe, v7, v2
	v_sub_nc_u32_e32 v2, 0x3f1, v15
	v_or_b32_e32 v7, 0x1000, v13
	v_med3_i32 v2, v2, 0, 13
	v_lshrrev_b32_e32 v16, v2, v7
	v_lshlrev_b32_e32 v2, v2, v16
	v_cmp_ne_u32_e32 vcc_lo, v2, v7
	v_cndmask_b32_e64 v2, 0, 1, s2
	v_add_nc_u32_e32 v7, 0xfffffc10, v20
	v_or_b32_e32 v2, v24, v2
	v_cmp_gt_i32_e64 s0, 1, v7
	v_lshl_or_b32 v20, v7, 12, v11
	v_cndmask_b32_e64 v11, 0, 1, s4
	v_cmp_eq_u32_e64 s6, 0x40f, v7
	v_cndmask_b32_e64 v2, v20, v2, s0
	v_or_b32_e32 v11, v27, v11
	v_and_b32_e32 v20, 7, v2
	v_lshrrev_b32_e32 v2, 2, v2
	v_cmp_lt_i32_e64 s0, 5, v20
	v_cmp_eq_u32_e64 s2, 3, v20
	v_add_nc_u32_e32 v20, 0xfffffc10, v26
	s_or_b32 s0, s2, s0
	v_cmp_gt_i32_e64 s4, 1, v20
	v_lshl_or_b32 v24, v20, 12, v22
	v_add_co_ci_u32_e64 v2, s0, 0, v2, s0
	v_cndmask_b32_e64 v11, v24, v11, s4
	v_cmp_gt_i32_e64 s4, 31, v7
	v_cndmask_b32_e64 v7, 0, 1, s5
	v_cmp_gt_i32_e64 s5, 31, v20
	v_cndmask_b32_e64 v2, 0x7c00, v2, s4
	v_lshl_or_b32 v7, v7, 9, 0x7c00
	v_cmp_ne_u32_e64 s4, 0, v22
	v_cndmask_b32_e64 v2, v2, v7, s6
	v_lshrrev_b32_e32 v7, 16, v12
	v_and_b32_e32 v12, 7, v11
	v_lshrrev_b32_e32 v11, 2, v11
	v_cmp_eq_u32_e64 s6, 0x40f, v20
	v_and_or_b32 v2, 0x8000, v7, v2
	v_cmp_lt_i32_e64 s0, 5, v12
	v_cmp_eq_u32_e64 s2, 3, v12
	v_cndmask_b32_e64 v12, 0, 1, s4
	v_and_b32_e32 v2, 0xffff, v2
	s_or_b32 s0, s2, s0
	v_lshl_or_b32 v12, v12, 9, 0x7c00
	v_add_co_ci_u32_e64 v11, s0, 0, v11, s0
	s_mul_hi_u32 s0, s12, 0xffffbf74
	s_mul_i32 s2, s13, 0xffffbf74
	s_sub_i32 s13, s0, s12
	v_cndmask_b32_e64 v11, 0x7c00, v11, s5
	s_mulk_i32 s12, 0xbf74
	s_add_i32 s13, s13, s2
	v_add_co_u32 v28, s0, v4, s12
	v_cndmask_b32_e64 v11, v11, v12, s6
	v_lshrrev_b32_e32 v12, 16, v14
	v_add_co_ci_u32_e64 v29, s0, s13, v5, s0
	v_and_or_b32 v7, 0x8000, v12, v11
	v_lshl_or_b32 v2, v7, 16, v2
	global_store_dword v[4:5], v2, off
	v_lshrrev_b32_e32 v2, 16, v10
	v_mul_f16_sdwa v4, v161, v10 dst_sel:DWORD dst_unused:UNUSED_PAD src0_sel:WORD_1 src1_sel:DWORD
	v_mul_f16_sdwa v7, v161, v2 dst_sel:DWORD dst_unused:UNUSED_PAD src0_sel:WORD_1 src1_sel:DWORD
	v_fma_f16 v2, v161, v2, -v4
	v_cvt_f32_f16_e32 v4, v18
	v_fmac_f16_e32 v7, v161, v10
	v_cvt_f32_f16_e32 v2, v2
	v_cvt_f64_f32_e32 v[4:5], v4
	v_mul_f64 v[11:12], v[4:5], s[16:17]
	v_and_or_b32 v4, 0x1ff, v12, v11
	v_lshrrev_b32_e32 v5, 8, v12
	v_bfe_u32 v26, v12, 20, 11
	v_lshrrev_b32_e32 v12, 16, v12
	v_cmp_ne_u32_e64 s0, 0, v4
	v_cndmask_b32_e64 v4, 0, 1, s0
	v_and_or_b32 v14, 0xffe, v5, v4
	v_sub_nc_u32_e32 v4, 0x3f1, v26
	v_or_b32_e32 v5, 0x1000, v14
	v_med3_i32 v4, v4, 0, 13
	v_lshrrev_b32_e32 v27, v4, v5
	v_lshlrev_b32_e32 v4, v4, v27
	v_cmp_ne_u32_e64 s4, v4, v5
	v_cvt_f32_f16_e32 v4, v7
	v_cvt_f64_f32_e32 v[4:5], v4
	v_mul_f64 v[10:11], v[4:5], s[16:17]
	v_and_or_b32 v4, 0x1ff, v11, v10
	v_lshrrev_b32_e32 v5, 8, v11
	v_bfe_u32 v22, v11, 20, 11
	v_lshrrev_b32_e32 v11, 16, v11
	v_cmp_ne_u32_e64 s0, 0, v4
	v_cndmask_b32_e64 v4, 0, 1, s0
	v_and_or_b32 v10, 0xffe, v5, v4
	v_sub_nc_u32_e32 v4, 0x3f1, v22
	v_add_nc_u32_e32 v22, 0xfffffc10, v22
	v_or_b32_e32 v5, 0x1000, v10
	v_med3_i32 v4, v4, 0, 13
	v_lshrrev_b32_e32 v24, v4, v5
	v_lshlrev_b32_e32 v4, v4, v24
	v_cmp_ne_u32_e64 s2, v4, v5
	v_cvt_f64_f32_e32 v[4:5], v2
	v_mul_f64 v[4:5], v[4:5], s[16:17]
	v_and_or_b32 v2, 0x1ff, v5, v4
	v_lshrrev_b32_e32 v4, 8, v5
	v_bfe_u32 v18, v5, 20, 11
	v_lshrrev_b32_e32 v5, 16, v5
	v_cmp_ne_u32_e64 s0, 0, v2
	v_cndmask_b32_e64 v2, 0, 1, s0
	v_and_or_b32 v4, 0xffe, v4, v2
	v_sub_nc_u32_e32 v2, 0x3f1, v18
	v_add_nc_u32_e32 v18, 0xfffffc10, v18
	v_or_b32_e32 v7, 0x1000, v4
	v_med3_i32 v2, v2, 0, 13
	v_lshrrev_b32_e32 v20, v2, v7
	v_lshlrev_b32_e32 v2, v2, v20
	v_cmp_ne_u32_e64 s0, v2, v7
	v_cndmask_b32_e64 v2, 0, 1, s1
	v_cndmask_b32_e64 v7, 0, 1, s3
	v_cmp_gt_i32_e64 s1, 1, v19
	v_or_b32_e32 v2, v23, v2
	v_lshl_or_b32 v23, v19, 12, v1
	v_or_b32_e32 v7, v25, v7
	v_cndmask_b32_e64 v2, v23, v2, s1
	v_cmp_gt_i32_e64 s1, 1, v21
	v_lshl_or_b32 v23, v21, 12, v17
	v_lshrrev_b32_e32 v1, 2, v2
	v_cndmask_b32_e64 v7, v23, v7, s1
	v_and_b32_e32 v23, 7, v2
	v_cndmask_b32_e64 v2, 0, 1, s7
	v_cmp_lt_i32_e64 s1, 5, v23
	v_cmp_eq_u32_e64 s3, 3, v23
	v_and_b32_e32 v23, 7, v7
	v_lshl_or_b32 v2, v2, 9, 0x7c00
	v_lshrrev_b32_e32 v7, 2, v7
	s_or_b32 s1, s3, s1
	v_cmp_lt_i32_e64 s5, 5, v23
	v_add_co_ci_u32_e64 v1, s1, 0, v1, s1
	v_cmp_eq_u32_e64 s6, 3, v23
	v_cmp_gt_i32_e64 s1, 31, v21
	v_cmp_eq_u32_e64 s3, 0x40f, v21
	v_cndmask_b32_e64 v1, 0x7c00, v1, s9
	s_or_b32 s5, s6, s5
	v_add_co_ci_u32_e64 v7, s5, 0, v7, s5
	v_cndmask_b32_e64 v1, v1, v2, s10
	v_lshrrev_b32_e32 v2, 16, v9
	v_cndmask_b32_e64 v9, 0, 1, s8
	v_cndmask_b32_e64 v7, 0x7c00, v7, s1
	v_and_or_b32 v1, 0x8000, v2, v1
	v_lshl_or_b32 v9, v9, 9, 0x7c00
	v_and_b32_e32 v1, 0xffff, v1
	v_cndmask_b32_e64 v7, v7, v9, s3
	v_and_or_b32 v2, 0x8000, v6, v7
	v_lshl_or_b32 v1, v2, 16, v1
	global_store_dword v[28:29], v1, off
	ds_read2_b32 v[1:2], v160 offset0:6 offset1:249
	v_add_co_u32 v28, s1, v28, s14
	v_add_co_ci_u32_e64 v29, s1, s11, v29, s1
	s_waitcnt lgkmcnt(0)
	v_lshrrev_b32_e32 v6, 16, v1
	v_mul_f16_sdwa v7, v159, v1 dst_sel:DWORD dst_unused:UNUSED_PAD src0_sel:WORD_1 src1_sel:DWORD
	v_fma_f16 v19, v159, v6, -v7
	v_mul_f16_sdwa v6, v159, v6 dst_sel:DWORD dst_unused:UNUSED_PAD src0_sel:WORD_1 src1_sel:DWORD
	v_fmac_f16_e32 v6, v159, v1
	v_cvt_f32_f16_e32 v1, v6
	v_cvt_f64_f32_e32 v[6:7], v1
	v_mul_f64 v[6:7], v[6:7], s[16:17]
	v_and_or_b32 v1, 0x1ff, v7, v6
	v_lshrrev_b32_e32 v6, 8, v7
	v_cmp_ne_u32_e64 s1, 0, v1
	v_cndmask_b32_e64 v1, 0, 1, s1
	v_and_or_b32 v1, 0xffe, v6, v1
	v_bfe_u32 v6, v7, 20, 11
	v_lshrrev_b32_e32 v7, 16, v7
	v_or_b32_e32 v21, 0x1000, v1
	v_sub_nc_u32_e32 v9, 0x3f1, v6
	v_add_nc_u32_e32 v6, 0xfffffc10, v6
	v_med3_i32 v9, v9, 0, 13
	v_lshrrev_b32_e32 v17, v9, v21
	v_lshlrev_b32_e32 v9, v9, v17
	v_cmp_ne_u32_e64 s1, v9, v21
	v_lshrrev_b32_e32 v9, 16, v8
	v_mul_f16_sdwa v21, v158, v9 dst_sel:DWORD dst_unused:UNUSED_PAD src0_sel:WORD_1 src1_sel:DWORD
	v_fmac_f16_e32 v21, v158, v8
	v_mul_f16_sdwa v8, v158, v8 dst_sel:DWORD dst_unused:UNUSED_PAD src0_sel:WORD_1 src1_sel:DWORD
	v_fma_f16 v23, v158, v9, -v8
	v_cndmask_b32_e64 v8, 0, 1, vcc_lo
	v_add_nc_u32_e32 v9, 0xfffffc10, v15
	v_or_b32_e32 v8, v16, v8
	v_cmp_gt_i32_e32 vcc_lo, 1, v9
	v_lshl_or_b32 v15, v9, 12, v13
	v_add_nc_u32_e32 v16, 0xfffffc10, v26
	v_cmp_gt_i32_e64 s7, 31, v9
	v_cmp_eq_u32_e64 s8, 0x40f, v9
	v_cndmask_b32_e32 v8, v15, v8, vcc_lo
	v_cndmask_b32_e64 v15, 0, 1, s4
	v_cmp_gt_i32_e32 vcc_lo, 1, v16
	v_lshl_or_b32 v25, v16, 12, v14
	v_cmp_ne_u32_e64 s4, 0, v13
	v_or_b32_e32 v15, v27, v15
	v_cndmask_b32_e64 v9, 0, 1, s4
	v_cmp_eq_u32_e64 s4, 0x40f, v16
	v_cndmask_b32_e32 v15, v25, v15, vcc_lo
	v_and_b32_e32 v25, 7, v8
	v_lshrrev_b32_e32 v8, 2, v8
	v_lshl_or_b32 v9, v9, 9, 0x7c00
	v_and_b32_e32 v13, 7, v15
	v_cmp_lt_i32_e32 vcc_lo, 5, v25
	v_cmp_eq_u32_e64 s3, 3, v25
	v_cmp_lt_i32_e64 s5, 5, v13
	v_cmp_eq_u32_e64 s6, 3, v13
	s_or_b32 vcc_lo, s3, vcc_lo
	v_cmp_gt_i32_e64 s3, 31, v16
	v_add_co_ci_u32_e32 v8, vcc_lo, 0, v8, vcc_lo
	v_cmp_ne_u32_e32 vcc_lo, 0, v14
	s_or_b32 s5, s6, s5
	v_cmp_ne_u32_e64 s6, 0, v10
	v_cndmask_b32_e64 v8, 0x7c00, v8, s7
	v_cmp_eq_u32_e64 s7, 0x40f, v22
	v_cndmask_b32_e64 v13, 0, 1, vcc_lo
	v_cndmask_b32_e64 v8, v8, v9, s8
	v_lshrrev_b32_e32 v9, 2, v15
	v_lshl_or_b32 v13, v13, 9, 0x7c00
	v_and_or_b32 v3, 0x8000, v3, v8
	v_add_co_ci_u32_e64 v9, s5, 0, v9, s5
	v_and_b32_e32 v3, 0xffff, v3
	v_cndmask_b32_e64 v9, 0x7c00, v9, s3
	v_cndmask_b32_e64 v9, v9, v13, s4
	v_and_or_b32 v8, 0x8000, v12, v9
	v_lshl_or_b32 v3, v8, 16, v3
	v_add_co_u32 v8, vcc_lo, v28, s14
	v_add_co_ci_u32_e32 v9, vcc_lo, s11, v29, vcc_lo
	global_store_dword v[28:29], v3, off
	v_cvt_f32_f16_e32 v3, v19
	v_cvt_f64_f32_e32 v[12:13], v3
	v_mul_f64 v[13:14], v[12:13], s[16:17]
	v_and_or_b32 v3, 0x1ff, v14, v13
	v_lshrrev_b32_e32 v12, 8, v14
	v_cmp_ne_u32_e32 vcc_lo, 0, v3
	v_cndmask_b32_e64 v3, 0, 1, vcc_lo
	v_and_or_b32 v19, 0xffe, v12, v3
	v_bfe_u32 v3, v14, 20, 11
	v_lshrrev_b32_e32 v14, 16, v14
	v_or_b32_e32 v13, 0x1000, v19
	v_sub_nc_u32_e32 v12, 0x3f1, v3
	v_med3_i32 v12, v12, 0, 13
	v_lshrrev_b32_e32 v25, v12, v13
	v_lshlrev_b32_e32 v12, v12, v25
	v_cmp_ne_u32_e64 s3, v12, v13
	v_cvt_f32_f16_e32 v12, v21
	v_cvt_f64_f32_e32 v[12:13], v12
	v_mul_f64 v[12:13], v[12:13], s[16:17]
	v_and_or_b32 v12, 0x1ff, v13, v12
	v_lshrrev_b32_e32 v15, 8, v13
	v_bfe_u32 v21, v13, 20, 11
	v_cmp_ne_u32_e32 vcc_lo, 0, v12
	v_cndmask_b32_e64 v12, 0, 1, vcc_lo
	v_and_or_b32 v12, 0xffe, v15, v12
	v_sub_nc_u32_e32 v15, 0x3f1, v21
	v_or_b32_e32 v16, 0x1000, v12
	v_med3_i32 v15, v15, 0, 13
	v_lshrrev_b32_e32 v26, v15, v16
	v_lshlrev_b32_e32 v15, v15, v26
	v_cmp_ne_u32_e32 vcc_lo, v15, v16
	v_cvt_f32_f16_e32 v15, v23
	v_cvt_f64_f32_e32 v[15:16], v15
	v_mul_f64 v[15:16], v[15:16], s[16:17]
	v_and_or_b32 v15, 0x1ff, v16, v15
	v_lshrrev_b32_e32 v23, 8, v16
	v_cmp_ne_u32_e64 s4, 0, v15
	v_cndmask_b32_e64 v15, 0, 1, s4
	v_and_or_b32 v15, 0xffe, v23, v15
	v_bfe_u32 v23, v16, 20, 11
	v_lshrrev_b32_e32 v16, 16, v16
	v_or_b32_e32 v28, 0x1000, v15
	v_sub_nc_u32_e32 v27, 0x3f1, v23
	v_med3_i32 v27, v27, 0, 13
	v_lshrrev_b32_e32 v29, v27, v28
	v_lshlrev_b32_e32 v27, v27, v29
	v_cmp_ne_u32_e64 s4, v27, v28
	v_cndmask_b32_e64 v27, 0, 1, s2
	v_cmp_gt_i32_e64 s2, 1, v22
	v_or_b32_e32 v24, v24, v27
	v_lshl_or_b32 v27, v22, 12, v10
	v_cndmask_b32_e64 v10, 0, 1, s0
	v_cmp_gt_i32_e64 s0, 1, v18
	v_cndmask_b32_e64 v24, v27, v24, s2
	v_or_b32_e32 v10, v20, v10
	v_lshl_or_b32 v20, v18, 12, v4
	v_and_b32_e32 v27, 7, v24
	v_cndmask_b32_e64 v10, v20, v10, s0
	v_lshrrev_b32_e32 v20, 2, v24
	v_cmp_gt_i32_e64 s0, 31, v22
	v_cmp_lt_i32_e64 s2, 5, v27
	v_cmp_eq_u32_e64 s5, 3, v27
	v_cndmask_b32_e64 v22, 0, 1, s6
	v_cmp_gt_i32_e64 s6, 31, v18
	s_or_b32 s2, s5, s2
	v_lshl_or_b32 v22, v22, 9, 0x7c00
	v_add_co_ci_u32_e64 v20, s2, 0, v20, s2
	v_cmp_ne_u32_e64 s5, 0, v4
	v_lshrrev_b32_e32 v4, 2, v10
	v_cndmask_b32_e64 v20, 0x7c00, v20, s0
	v_cndmask_b32_e64 v20, v20, v22, s7
	v_and_b32_e32 v22, 7, v10
	v_cndmask_b32_e64 v10, 0, 1, s5
	v_cmp_eq_u32_e64 s7, 0x40f, v18
	v_add_nc_u32_e32 v18, 0xfffffc10, v21
	v_cmp_lt_i32_e64 s0, 5, v22
	v_cmp_eq_u32_e64 s2, 3, v22
	v_lshl_or_b32 v10, v10, 9, 0x7c00
	s_or_b32 s0, s2, s0
	v_cmp_ne_u32_e64 s2, 0, v1
	v_add_co_ci_u32_e64 v4, s0, 0, v4, s0
	v_cmp_gt_i32_e64 s0, 1, v6
	v_cndmask_b32_e64 v4, 0x7c00, v4, s6
	v_cndmask_b32_e64 v4, v4, v10, s7
	v_and_or_b32 v10, 0x8000, v11, v20
	v_lshl_or_b32 v11, v6, 12, v1
	v_add_nc_u32_e32 v20, 0xfffffc10, v23
	v_and_or_b32 v4, 0x8000, v5, v4
	v_cndmask_b32_e64 v5, 0, 1, s1
	v_and_b32_e32 v10, 0xffff, v10
	v_or_b32_e32 v5, v17, v5
	v_lshl_or_b32 v4, v4, 16, v10
	v_cndmask_b32_e64 v10, 0, 1, s3
	v_cndmask_b32_e64 v5, v11, v5, s0
	v_add_nc_u32_e32 v11, 0xfffffc10, v3
	v_or_b32_e32 v10, v25, v10
	global_store_dword v[8:9], v4, off
	v_cmp_gt_i32_e64 s0, 1, v11
	v_lshl_or_b32 v3, v11, 12, v19
	v_cndmask_b32_e64 v10, v3, v10, s0
	v_and_b32_e32 v3, 7, v5
	v_and_b32_e32 v1, 7, v10
	v_cmp_lt_i32_e64 s0, 5, v3
	v_cmp_eq_u32_e64 s1, 3, v3
	v_cndmask_b32_e64 v3, 0, 1, s2
	v_cmp_eq_u32_e64 s2, 0x40f, v11
	v_cmp_lt_i32_e64 s3, 5, v1
	v_cmp_eq_u32_e64 s5, 3, v1
	v_lshrrev_b32_e32 v1, 2, v5
	s_or_b32 s0, s1, s0
	v_cmp_eq_u32_e64 s1, 0x40f, v6
	v_lshl_or_b32 v3, v3, 9, 0x7c00
	v_add_co_ci_u32_e64 v1, s0, 0, v1, s0
	v_cmp_gt_i32_e64 s0, 31, v6
	v_cndmask_b32_e64 v1, 0x7c00, v1, s0
	v_cmp_ne_u32_e64 s0, 0, v19
	v_cndmask_b32_e64 v1, v1, v3, s1
	ds_read2_b32 v[3:4], v162 offset0:12 offset1:255
	v_cmp_gt_i32_e64 s1, 31, v11
	v_cndmask_b32_e64 v11, 0, 1, s0
	v_and_or_b32 v1, 0x8000, v7, v1
	v_lshl_or_b32 v11, v11, 9, 0x7c00
	v_and_b32_e32 v1, 0xffff, v1
	s_waitcnt lgkmcnt(0)
	v_lshrrev_b32_e32 v5, 16, v3
	v_mul_f16_sdwa v6, v156, v3 dst_sel:DWORD dst_unused:UNUSED_PAD src0_sel:WORD_1 src1_sel:DWORD
	v_fma_f16 v17, v156, v5, -v6
	v_mul_f16_sdwa v5, v156, v5 dst_sel:DWORD dst_unused:UNUSED_PAD src0_sel:WORD_1 src1_sel:DWORD
	v_lshrrev_b32_e32 v6, 2, v10
	v_cvt_f32_f16_e32 v17, v17
	v_fmac_f16_e32 v5, v156, v3
	v_cndmask_b32_e64 v3, 0, 1, vcc_lo
	s_or_b32 vcc_lo, s5, s3
	v_add_co_ci_u32_e32 v10, vcc_lo, 0, v6, vcc_lo
	v_or_b32_e32 v3, v26, v3
	v_lshl_or_b32 v6, v18, 12, v12
	v_cmp_gt_i32_e32 vcc_lo, 1, v18
	v_cvt_f32_f16_e32 v5, v5
	v_cndmask_b32_e64 v10, 0x7c00, v10, s1
	v_cmp_gt_i32_e64 s1, 1, v20
	v_cndmask_b32_e32 v3, v6, v3, vcc_lo
	v_cvt_f64_f32_e32 v[5:6], v5
	v_cndmask_b32_e64 v19, v10, v11, s2
	v_lshl_or_b32 v11, v20, 12, v15
	v_and_b32_e32 v10, 7, v3
	v_lshrrev_b32_e32 v3, 2, v3
	v_and_or_b32 v14, 0x8000, v14, v19
	v_cmp_lt_i32_e32 vcc_lo, 5, v10
	v_cmp_eq_u32_e64 s0, 3, v10
	v_cndmask_b32_e64 v10, 0, 1, s4
	v_lshl_or_b32 v1, v14, 16, v1
	s_or_b32 vcc_lo, s0, vcc_lo
	v_or_b32_e32 v10, v29, v10
	v_add_co_ci_u32_e32 v3, vcc_lo, 0, v3, vcc_lo
	v_cmp_gt_i32_e32 vcc_lo, 31, v18
	v_cndmask_b32_e64 v21, v11, v10, s1
	v_mul_f64 v[5:6], v[5:6], s[16:17]
	v_cvt_f64_f32_e32 v[10:11], v17
	v_cmp_ne_u32_e64 s1, 0, v12
	v_cndmask_b32_e32 v3, 0x7c00, v3, vcc_lo
	v_and_b32_e32 v7, 7, v21
	v_cmp_eq_u32_e32 vcc_lo, 0x40f, v18
	v_cndmask_b32_e64 v12, 0, 1, s1
	v_cmp_lt_i32_e64 s0, 5, v7
	v_cmp_eq_u32_e64 s1, 3, v7
	v_lshrrev_b32_e32 v7, 2, v21
	v_lshl_or_b32 v12, v12, 9, 0x7c00
	s_or_b32 s0, s1, s0
	v_cndmask_b32_e32 v3, v3, v12, vcc_lo
	v_lshrrev_b32_e32 v12, 16, v2
	v_and_or_b32 v5, 0x1ff, v6, v5
	v_mul_f64 v[10:11], v[10:11], s[16:17]
	v_lshrrev_b32_e32 v17, 8, v6
	v_bfe_u32 v18, v6, 20, 11
	v_mul_f16_sdwa v19, v155, v12 dst_sel:DWORD dst_unused:UNUSED_PAD src0_sel:WORD_1 src1_sel:DWORD
	v_cmp_ne_u32_e32 vcc_lo, 0, v5
	v_lshrrev_b32_e32 v5, 16, v13
	v_fmac_f16_e32 v19, v155, v2
	v_cndmask_b32_e64 v13, 0, 1, vcc_lo
	v_cmp_ne_u32_e32 vcc_lo, 0, v15
	v_add_co_ci_u32_e64 v15, s0, 0, v7, s0
	v_add_co_u32 v7, s0, v8, s12
	v_cndmask_b32_e64 v21, 0, 1, vcc_lo
	v_and_or_b32 v17, 0xffe, v17, v13
	v_cmp_gt_i32_e32 vcc_lo, 31, v20
	v_add_co_ci_u32_e64 v8, s0, s13, v9, s0
	v_sub_nc_u32_e32 v9, 0x3f1, v18
	v_and_or_b32 v3, 0x8000, v5, v3
	v_cndmask_b32_e32 v13, 0x7c00, v15, vcc_lo
	v_lshl_or_b32 v15, v21, 9, 0x7c00
	v_or_b32_e32 v21, 0x1000, v17
	v_cmp_eq_u32_e32 vcc_lo, 0x40f, v20
	v_med3_i32 v20, v9, 0, 13
	v_and_or_b32 v9, 0x1ff, v11, v10
	v_cvt_f32_f16_e32 v10, v19
	v_add_nc_u32_e32 v18, 0xfffffc10, v18
	v_cndmask_b32_e32 v13, v13, v15, vcc_lo
	v_lshrrev_b32_e32 v15, v20, v21
	v_cmp_ne_u32_e32 vcc_lo, 0, v9
	v_cvt_f64_f32_e32 v[9:10], v10
	v_mul_f16_sdwa v2, v155, v2 dst_sel:DWORD dst_unused:UNUSED_PAD src0_sel:WORD_1 src1_sel:DWORD
	v_and_or_b32 v5, 0x8000, v16, v13
	v_lshlrev_b32_e32 v19, v20, v15
	v_cndmask_b32_e64 v20, 0, 1, vcc_lo
	v_and_b32_e32 v3, 0xffff, v3
	v_fma_f16 v2, v155, v12, -v2
	global_store_dword v[7:8], v1, off
	v_cmp_ne_u32_e32 vcc_lo, v19, v21
	v_lshrrev_b32_e32 v19, 8, v11
	v_bfe_u32 v21, v11, 20, 11
	v_lshl_or_b32 v3, v5, 16, v3
	v_cvt_f32_f16_e32 v2, v2
	v_cndmask_b32_e64 v13, 0, 1, vcc_lo
	v_and_or_b32 v16, 0xffe, v19, v20
	v_sub_nc_u32_e32 v19, 0x3f1, v21
	v_lshl_or_b32 v20, v18, 12, v17
	v_cmp_gt_i32_e32 vcc_lo, 1, v18
	v_or_b32_e32 v13, v15, v13
	v_or_b32_e32 v15, 0x1000, v16
	v_med3_i32 v19, v19, 0, 13
	v_lshrrev_b32_e32 v11, 16, v11
	v_mul_f64 v[9:10], v[9:10], s[16:17]
	v_cndmask_b32_e32 v5, v20, v13, vcc_lo
	v_add_nc_u32_e32 v20, 0xfffffc10, v21
	v_lshrrev_b32_e32 v22, v19, v15
	v_add_co_u32 v12, vcc_lo, v7, s14
	v_lshl_or_b32 v7, v20, 12, v16
	v_lshlrev_b32_e32 v13, v19, v22
	v_and_b32_e32 v19, 7, v5
	v_cmp_gt_i32_e64 s1, 1, v20
	v_lshrrev_b32_e32 v5, 2, v5
	v_cmp_ne_u32_e64 s0, v13, v15
	v_cvt_f64_f32_e32 v[14:15], v2
	v_add_co_ci_u32_e32 v13, vcc_lo, s11, v8, vcc_lo
	v_cmp_lt_i32_e32 vcc_lo, 5, v19
	v_cndmask_b32_e64 v1, 0, 1, s0
	v_cmp_eq_u32_e64 s0, 3, v19
	global_store_dword v[12:13], v3, off
	v_and_or_b32 v2, 0x1ff, v10, v9
	v_or_b32_e32 v1, v22, v1
	s_or_b32 vcc_lo, s0, vcc_lo
	v_lshrrev_b32_e32 v21, 8, v10
	v_add_co_ci_u32_e32 v5, vcc_lo, 0, v5, vcc_lo
	v_cmp_ne_u32_e64 s2, 0, v2
	v_cndmask_b32_e64 v9, v7, v1, s1
	ds_read2_b32 v[1:2], v157 offset0:4 offset1:247
	v_cmp_ne_u32_e32 vcc_lo, 0, v17
	v_bfe_u32 v17, v10, 20, 11
	v_cndmask_b32_e64 v19, 0, 1, s2
	v_and_b32_e32 v22, 7, v9
	v_lshrrev_b32_e32 v9, 2, v9
	v_mul_f64 v[7:8], v[14:15], s[16:17]
	v_sub_nc_u32_e32 v15, 0x3f1, v17
	v_and_or_b32 v19, 0xffe, v21, v19
	v_cndmask_b32_e64 v14, 0, 1, vcc_lo
	v_cmp_gt_i32_e32 vcc_lo, 31, v18
	v_cmp_lt_i32_e64 s0, 5, v22
	v_med3_i32 v15, v15, 0, 13
	v_or_b32_e32 v21, 0x1000, v19
	v_cmp_eq_u32_e64 s1, 3, v22
	v_cndmask_b32_e32 v5, 0x7c00, v5, vcc_lo
	v_lshl_or_b32 v14, v14, 9, 0x7c00
	v_cmp_eq_u32_e32 vcc_lo, 0x40f, v18
	v_lshrrev_b32_e32 v18, v15, v21
	s_or_b32 s0, s1, s0
	s_waitcnt lgkmcnt(0)
	v_lshrrev_b32_e32 v23, 16, v1
	v_add_co_ci_u32_e64 v9, s0, 0, v9, s0
	v_cndmask_b32_e32 v14, v5, v14, vcc_lo
	v_lshrrev_b32_e32 v22, 16, v6
	v_lshlrev_b32_e32 v5, v15, v18
	v_cmp_gt_i32_e32 vcc_lo, 31, v20
	v_cmp_ne_u32_e64 s0, 0, v16
	v_and_or_b32 v6, 0x1ff, v8, v7
	v_mul_f16_sdwa v7, v152, v23 dst_sel:DWORD dst_unused:UNUSED_PAD src0_sel:WORD_1 src1_sel:DWORD
	v_cmp_ne_u32_e64 s1, v5, v21
	v_cndmask_b32_e32 v9, 0x7c00, v9, vcc_lo
	v_add_nc_u32_e32 v16, 0xfffffc10, v17
	v_cmp_ne_u32_e32 vcc_lo, 0, v6
	v_fmac_f16_e32 v7, v152, v1
	v_cndmask_b32_e64 v5, 0, 1, s1
	v_lshrrev_b32_e32 v17, 8, v8
	v_bfe_u32 v24, v8, 20, 11
	v_cndmask_b32_e64 v6, 0, 1, vcc_lo
	v_cvt_f32_f16_e32 v7, v7
	v_or_b32_e32 v18, v18, v5
	v_cndmask_b32_e64 v15, 0, 1, s0
	v_lshl_or_b32 v21, v16, 12, v19
	v_and_or_b32 v17, 0xffe, v17, v6
	v_cvt_f64_f32_e32 v[5:6], v7
	v_sub_nc_u32_e32 v7, 0x3f1, v24
	v_cmp_gt_i32_e32 vcc_lo, 1, v16
	v_cmp_eq_u32_e64 s0, 0x40f, v20
	v_or_b32_e32 v20, 0x1000, v17
	v_mul_f16_sdwa v1, v152, v1 dst_sel:DWORD dst_unused:UNUSED_PAD src0_sel:WORD_1 src1_sel:DWORD
	v_med3_i32 v7, v7, 0, 13
	v_lshl_or_b32 v15, v15, 9, 0x7c00
	v_cndmask_b32_e32 v18, v21, v18, vcc_lo
	v_and_or_b32 v14, 0x8000, v22, v14
	v_fma_f16 v1, v152, v23, -v1
	v_lshrrev_b32_e32 v21, v7, v20
	v_cndmask_b32_e64 v9, v9, v15, s0
	v_and_b32_e32 v15, 7, v18
	v_lshrrev_b32_e32 v8, 16, v8
	v_cvt_f32_f16_e32 v1, v1
	v_lshlrev_b32_e32 v7, v7, v21
	v_and_or_b32 v9, 0x8000, v11, v9
	v_cmp_lt_i32_e32 vcc_lo, 5, v15
	v_cmp_eq_u32_e64 s0, 3, v15
	v_lshrrev_b32_e32 v11, 2, v18
	v_cmp_ne_u32_e64 s1, v7, v20
	v_mul_f64 v[5:6], v[5:6], s[16:17]
	v_and_b32_e32 v7, 0xffff, v14
	v_cvt_f64_f32_e32 v[14:15], v1
	s_or_b32 vcc_lo, s0, vcc_lo
	v_cmp_ne_u32_e64 s0, 0, v19
	v_add_co_ci_u32_e32 v11, vcc_lo, 0, v11, vcc_lo
	v_cndmask_b32_e64 v1, 0, 1, s1
	v_add_nc_u32_e32 v18, 0xfffffc10, v24
	v_cmp_gt_i32_e32 vcc_lo, 31, v16
	v_cndmask_b32_e64 v19, 0, 1, s0
	v_lshl_or_b32 v3, v9, 16, v7
	v_or_b32_e32 v1, v21, v1
	v_lshl_or_b32 v20, v18, 12, v17
	v_cmp_gt_i32_e64 s0, 1, v18
	v_cndmask_b32_e32 v11, 0x7c00, v11, vcc_lo
	v_lshl_or_b32 v19, v19, 9, 0x7c00
	v_cmp_eq_u32_e32 vcc_lo, 0x40f, v16
	v_lshrrev_b32_e32 v16, 16, v10
	v_cndmask_b32_e64 v1, v20, v1, s0
	v_and_or_b32 v5, 0x1ff, v6, v5
	v_cndmask_b32_e32 v7, v11, v19, vcc_lo
	v_mul_f64 v[9:10], v[14:15], s[16:17]
	v_and_b32_e32 v19, 7, v1
	v_lshrrev_b32_e32 v14, 8, v6
	v_cmp_ne_u32_e32 vcc_lo, 0, v5
	v_bfe_u32 v15, v6, 20, 11
	v_add_co_u32 v11, s0, v12, s14
	v_cmp_lt_i32_e64 s1, 5, v19
	v_cndmask_b32_e64 v5, 0, 1, vcc_lo
	v_cmp_eq_u32_e64 s2, 3, v19
	v_lshrrev_b32_e32 v1, 2, v1
	v_add_co_ci_u32_e64 v12, vcc_lo, s11, v13, s0
	v_and_or_b32 v19, 0xffe, v14, v5
	v_lshrrev_b32_e32 v5, 16, v4
	v_sub_nc_u32_e32 v13, 0x3f1, v15
	s_or_b32 vcc_lo, s2, s1
	v_cmp_gt_i32_e64 s0, 31, v18
	v_add_co_ci_u32_e32 v1, vcc_lo, 0, v1, vcc_lo
	v_mul_f16_sdwa v14, v151, v5 dst_sel:DWORD dst_unused:UNUSED_PAD src0_sel:WORD_1 src1_sel:DWORD
	v_cmp_ne_u32_e32 vcc_lo, 0, v17
	v_or_b32_e32 v17, 0x1000, v19
	v_med3_i32 v13, v13, 0, 13
	v_and_or_b32 v9, 0x1ff, v10, v9
	v_fmac_f16_e32 v14, v151, v4
	v_cndmask_b32_e64 v20, 0, 1, vcc_lo
	v_cndmask_b32_e64 v1, 0x7c00, v1, s0
	v_lshrrev_b32_e32 v21, v13, v17
	v_cmp_ne_u32_e32 vcc_lo, 0, v9
	v_cvt_f32_f16_e32 v9, v14
	v_cmp_eq_u32_e64 s0, 0x40f, v18
	v_lshrrev_b32_e32 v23, 8, v10
	v_lshlrev_b32_e32 v18, v13, v21
	v_cndmask_b32_e64 v22, 0, 1, vcc_lo
	v_cvt_f64_f32_e32 v[13:14], v9
	v_bfe_u32 v9, v10, 20, 11
	v_lshl_or_b32 v20, v20, 9, 0x7c00
	v_cmp_ne_u32_e32 vcc_lo, v18, v17
	v_and_or_b32 v17, 0xffe, v23, v22
	v_and_or_b32 v7, 0x8000, v16, v7
	v_sub_nc_u32_e32 v16, 0x3f1, v9
	v_mul_f16_sdwa v4, v151, v4 dst_sel:DWORD dst_unused:UNUSED_PAD src0_sel:WORD_1 src1_sel:DWORD
	v_cndmask_b32_e64 v1, v1, v20, s0
	v_cndmask_b32_e64 v18, 0, 1, vcc_lo
	v_or_b32_e32 v20, 0x1000, v17
	v_med3_i32 v16, v16, 0, 13
	v_add_nc_u32_e32 v15, 0xfffffc10, v15
	v_fma_f16 v4, v151, v5, -v4
	v_or_b32_e32 v18, v21, v18
	v_and_or_b32 v1, 0x8000, v8, v1
	v_lshrrev_b32_e32 v21, v16, v20
	v_lshl_or_b32 v22, v15, 12, v19
	v_cmp_gt_i32_e32 vcc_lo, 1, v15
	v_cvt_f32_f16_e32 v8, v4
	global_store_dword v[11:12], v3, off
	v_lshlrev_b32_e32 v16, v16, v21
	v_mul_f64 v[4:5], v[13:14], s[16:17]
	v_cndmask_b32_e32 v13, v22, v18, vcc_lo
	v_and_b32_e32 v14, 0xffff, v7
	v_cvt_f64_f32_e32 v[7:8], v8
	v_cmp_ne_u32_e32 vcc_lo, v16, v20
	v_add_nc_u32_e32 v9, 0xfffffc10, v9
	v_and_b32_e32 v3, 7, v13
	v_lshl_or_b32 v1, v1, 16, v14
	v_cmp_ne_u32_e64 s2, 0, v19
	v_cndmask_b32_e64 v14, 0, 1, vcc_lo
	v_add_co_u32 v11, s0, v11, s12
	v_cmp_lt_i32_e32 vcc_lo, 5, v3
	v_cmp_eq_u32_e64 s1, 3, v3
	v_lshrrev_b32_e32 v3, 2, v13
	v_or_b32_e32 v13, v21, v14
	v_lshl_or_b32 v14, v9, 12, v17
	v_cndmask_b32_e64 v18, 0, 1, s2
	s_or_b32 vcc_lo, s1, vcc_lo
	v_cmp_gt_i32_e64 s1, 31, v15
	v_add_co_ci_u32_e32 v16, vcc_lo, 0, v3, vcc_lo
	v_and_or_b32 v19, 0x1ff, v5, v4
	ds_read2_b32 v[3:4], v154 offset0:12 offset1:255
	v_cmp_gt_i32_e32 vcc_lo, 1, v9
	v_mul_f64 v[7:8], v[7:8], s[16:17]
	v_add_co_ci_u32_e64 v12, s0, s13, v12, s0
	v_cmp_ne_u32_e64 s2, 0, v19
	v_cndmask_b32_e32 v13, v14, v13, vcc_lo
	v_cndmask_b32_e64 v14, 0x7c00, v16, s1
	v_lshl_or_b32 v16, v18, 9, 0x7c00
	v_cmp_eq_u32_e32 vcc_lo, 0x40f, v15
	v_cndmask_b32_e64 v18, 0, 1, s2
	v_lshrrev_b32_e32 v15, 8, v5
	v_and_b32_e32 v19, 7, v13
	v_bfe_u32 v20, v5, 20, 11
	global_store_dword v[11:12], v1, off
	v_cndmask_b32_e32 v1, v14, v16, vcc_lo
	v_and_or_b32 v15, 0xffe, v15, v18
	v_cmp_lt_i32_e32 vcc_lo, 5, v19
	v_sub_nc_u32_e32 v14, 0x3f1, v20
	v_cmp_eq_u32_e64 s0, 3, v19
	s_waitcnt lgkmcnt(0)
	v_lshrrev_b32_e32 v18, 16, v3
	v_or_b32_e32 v16, 0x1000, v15
	v_lshrrev_b32_e32 v13, 2, v13
	v_med3_i32 v14, v14, 0, 13
	s_or_b32 vcc_lo, s0, vcc_lo
	v_cmp_ne_u32_e64 s0, 0, v17
	v_mul_f16_sdwa v17, v150, v18 dst_sel:DWORD dst_unused:UNUSED_PAD src0_sel:WORD_1 src1_sel:DWORD
	v_and_or_b32 v7, 0x1ff, v8, v7
	v_lshrrev_b32_e32 v19, v14, v16
	v_add_co_ci_u32_e32 v13, vcc_lo, 0, v13, vcc_lo
	v_fmac_f16_e32 v17, v150, v3
	v_cmp_ne_u32_e32 vcc_lo, 0, v7
	v_lshlrev_b32_e32 v7, v14, v19
	v_cndmask_b32_e64 v21, 0, 1, s0
	v_cmp_gt_i32_e64 s0, 31, v9
	v_cvt_f32_f16_e32 v14, v17
	v_cndmask_b32_e64 v22, 0, 1, vcc_lo
	v_cmp_ne_u32_e32 vcc_lo, v7, v16
	v_lshrrev_b32_e32 v7, 8, v8
	v_cndmask_b32_e64 v17, 0x7c00, v13, s0
	v_cvt_f64_f32_e32 v[13:14], v14
	v_bfe_u32 v16, v8, 20, 11
	v_cndmask_b32_e64 v23, 0, 1, vcc_lo
	v_and_or_b32 v22, 0xffe, v7, v22
	v_mul_f16_sdwa v3, v150, v3 dst_sel:DWORD dst_unused:UNUSED_PAD src0_sel:WORD_1 src1_sel:DWORD
	v_add_nc_u32_e32 v20, 0xfffffc10, v20
	v_sub_nc_u32_e32 v7, 0x3f1, v16
	v_or_b32_e32 v19, v19, v23
	v_or_b32_e32 v23, 0x1000, v22
	v_lshl_or_b32 v21, v21, 9, 0x7c00
	v_cmp_eq_u32_e64 s0, 0x40f, v9
	v_med3_i32 v7, v7, 0, 13
	v_fma_f16 v3, v150, v18, -v3
	v_lshl_or_b32 v24, v20, 12, v15
	v_cmp_gt_i32_e32 vcc_lo, 1, v20
	v_lshrrev_b32_e32 v9, 16, v6
	v_lshrrev_b32_e32 v25, v7, v23
	v_cndmask_b32_e64 v17, v17, v21, s0
	v_lshrrev_b32_e32 v10, 16, v10
	v_cvt_f32_f16_e32 v3, v3
	v_cndmask_b32_e32 v19, v24, v19, vcc_lo
	v_lshlrev_b32_e32 v18, v7, v25
	v_mul_f64 v[6:7], v[13:14], s[16:17]
	v_and_or_b32 v1, 0x8000, v9, v1
	v_and_or_b32 v13, 0x8000, v10, v17
	v_cvt_f64_f32_e32 v[9:10], v3
	v_and_b32_e32 v21, 7, v19
	v_cmp_ne_u32_e32 vcc_lo, v18, v23
	v_add_nc_u32_e32 v14, 0xfffffc10, v16
	v_lshrrev_b32_e32 v16, 2, v19
	v_and_b32_e32 v1, 0xffff, v1
	v_cmp_lt_i32_e64 s0, 5, v21
	v_cndmask_b32_e64 v3, 0, 1, vcc_lo
	v_cmp_eq_u32_e32 vcc_lo, 3, v21
	v_lshl_or_b32 v17, v14, 12, v22
	v_cmp_gt_i32_e64 s1, 1, v14
	v_lshl_or_b32 v1, v13, 16, v1
	v_or_b32_e32 v3, v25, v3
	s_or_b32 vcc_lo, vcc_lo, s0
	v_cmp_ne_u32_e64 s0, 0, v15
	v_add_co_ci_u32_e32 v15, vcc_lo, 0, v16, vcc_lo
	v_cmp_gt_i32_e32 vcc_lo, 31, v20
	v_cndmask_b32_e64 v3, v17, v3, s1
	v_and_or_b32 v6, 0x1ff, v7, v6
	v_lshrrev_b32_e32 v17, 16, v2
	v_cndmask_b32_e64 v16, 0, 1, s0
	v_cndmask_b32_e32 v13, 0x7c00, v15, vcc_lo
	v_mul_f64 v[9:10], v[9:10], s[16:17]
	v_cmp_ne_u32_e32 vcc_lo, 0, v6
	v_cmp_eq_u32_e64 s1, 0x40f, v20
	v_mul_f16_sdwa v20, v149, v17 dst_sel:DWORD dst_unused:UNUSED_PAD src0_sel:WORD_1 src1_sel:DWORD
	v_lshrrev_b32_e32 v18, 8, v7
	v_bfe_u32 v19, v7, 20, 11
	v_cndmask_b32_e64 v6, 0, 1, vcc_lo
	v_lshl_or_b32 v15, v16, 9, 0x7c00
	v_fmac_f16_e32 v20, v149, v2
	v_and_b32_e32 v16, 7, v3
	v_add_co_u32 v11, s0, v11, s14
	v_and_or_b32 v18, 0xffe, v18, v6
	v_sub_nc_u32_e32 v6, 0x3f1, v19
	v_cndmask_b32_e64 v13, v13, v15, s1
	v_lshrrev_b32_e32 v15, 16, v5
	v_cvt_f32_f16_e32 v5, v20
	v_or_b32_e32 v21, 0x1000, v18
	v_med3_i32 v23, v6, 0, 13
	v_add_co_ci_u32_e64 v12, vcc_lo, s11, v12, s0
	v_cvt_f64_f32_e32 v[5:6], v5
	v_cmp_lt_i32_e32 vcc_lo, 5, v16
	v_cmp_eq_u32_e64 s0, 3, v16
	v_lshrrev_b32_e32 v16, v23, v21
	v_lshrrev_b32_e32 v3, 2, v3
	v_and_or_b32 v9, 0x1ff, v10, v9
	v_mul_f16_sdwa v25, v149, v2 dst_sel:DWORD dst_unused:UNUSED_PAD src0_sel:WORD_1 src1_sel:DWORD
	s_or_b32 vcc_lo, s0, vcc_lo
	v_cmp_ne_u32_e64 s0, 0, v22
	v_lshlrev_b32_e32 v20, v23, v16
	v_add_co_ci_u32_e32 v3, vcc_lo, 0, v3, vcc_lo
	v_cmp_ne_u32_e64 s1, 0, v9
	v_cndmask_b32_e64 v9, 0, 1, s0
	v_cmp_gt_i32_e32 vcc_lo, 31, v14
	v_cmp_ne_u32_e64 s0, v20, v21
	v_lshrrev_b32_e32 v20, 8, v10
	v_cndmask_b32_e64 v22, 0, 1, s1
	v_bfe_u32 v21, v10, 20, 11
	v_cndmask_b32_e32 v23, 0x7c00, v3, vcc_lo
	v_cndmask_b32_e64 v3, 0, 1, s0
	v_lshl_or_b32 v9, v9, 9, 0x7c00
	v_cmp_eq_u32_e32 vcc_lo, 0x40f, v14
	v_and_or_b32 v20, 0xffe, v20, v22
	v_sub_nc_u32_e32 v22, 0x3f1, v21
	v_or_b32_e32 v14, v16, v3
	v_mul_f64 v[2:3], v[5:6], s[16:17]
	v_fma_f16 v6, v149, v17, -v25
	v_add_nc_u32_e32 v19, 0xfffffc10, v19
	v_cndmask_b32_e32 v5, v23, v9, vcc_lo
	v_lshrrev_b32_e32 v8, 16, v8
	v_or_b32_e32 v16, 0x1000, v20
	v_cvt_f32_f16_e32 v6, v6
	v_med3_i32 v22, v22, 0, 13
	v_lshl_or_b32 v24, v19, 12, v18
	v_cmp_gt_i32_e64 s0, 1, v19
	v_and_or_b32 v8, 0x8000, v8, v5
	v_cvt_f64_f32_e32 v[5:6], v6
	v_lshrrev_b32_e32 v26, v22, v16
	v_and_or_b32 v13, 0x8000, v15, v13
	v_cndmask_b32_e64 v9, v24, v14, s0
	global_store_dword v[11:12], v1, off
	v_lshrrev_b32_e32 v25, 16, v10
	v_lshlrev_b32_e32 v14, v22, v26
	v_and_b32_e32 v13, 0xffff, v13
	v_and_b32_e32 v15, 7, v9
	v_lshrrev_b32_e32 v9, 2, v9
	v_cmp_ne_u32_e32 vcc_lo, v14, v16
	v_and_or_b32 v16, 0x1ff, v3, v2
	v_cmp_lt_i32_e64 s0, 5, v15
	v_cmp_eq_u32_e64 s1, 3, v15
	ds_read2_b32 v[1:2], v153 offset0:2 offset1:245
	v_cndmask_b32_e64 v14, 0, 1, vcc_lo
	v_add_nc_u32_e32 v15, 0xfffffc10, v21
	v_cmp_ne_u32_e64 s2, 0, v16
	s_or_b32 vcc_lo, s1, s0
	v_cmp_ne_u32_e64 s0, 0, v18
	v_or_b32_e32 v14, v26, v14
	v_mul_f64 v[5:6], v[5:6], s[16:17]
	v_lshl_or_b32 v17, v15, 12, v20
	v_cmp_gt_i32_e64 s1, 1, v15
	v_add_co_ci_u32_e32 v9, vcc_lo, 0, v9, vcc_lo
	v_cndmask_b32_e64 v16, 0, 1, s0
	v_cmp_gt_i32_e32 vcc_lo, 31, v19
	v_cndmask_b32_e64 v14, v17, v14, s1
	v_cndmask_b32_e64 v17, 0, 1, s2
	v_lshrrev_b32_e32 v18, 8, v3
	v_bfe_u32 v21, v3, 20, 11
	v_cndmask_b32_e32 v9, 0x7c00, v9, vcc_lo
	v_lshl_or_b32 v16, v16, 9, 0x7c00
	v_cmp_eq_u32_e32 vcc_lo, 0x40f, v19
	v_lshl_or_b32 v13, v8, 16, v13
	v_and_or_b32 v17, 0xffe, v18, v17
	v_sub_nc_u32_e32 v8, 0x3f1, v21
	v_and_b32_e32 v19, 7, v14
	v_cndmask_b32_e32 v9, v9, v16, vcc_lo
	s_waitcnt lgkmcnt(0)
	v_lshrrev_b32_e32 v16, 16, v1
	v_or_b32_e32 v18, 0x1000, v17
	v_med3_i32 v8, v8, 0, 13
	v_cmp_lt_i32_e32 vcc_lo, 5, v19
	v_cmp_eq_u32_e64 s0, 3, v19
	v_lshrrev_b32_e32 v19, 16, v7
	v_mul_f16_sdwa v7, v147, v16 dst_sel:DWORD dst_unused:UNUSED_PAD src0_sel:WORD_1 src1_sel:DWORD
	v_lshrrev_b32_e32 v14, 2, v14
	v_lshrrev_b32_e32 v22, v8, v18
	v_and_or_b32 v5, 0x1ff, v6, v5
	s_or_b32 vcc_lo, s0, vcc_lo
	v_fmac_f16_e32 v7, v147, v1
	v_add_co_ci_u32_e32 v14, vcc_lo, 0, v14, vcc_lo
	v_lshlrev_b32_e32 v8, v8, v22
	v_cmp_ne_u32_e32 vcc_lo, 0, v5
	v_cvt_f32_f16_e32 v7, v7
	v_cmp_ne_u32_e64 s0, 0, v20
	v_lshrrev_b32_e32 v20, 8, v6
	v_cmp_ne_u32_e64 s1, v8, v18
	v_cndmask_b32_e64 v18, 0, 1, vcc_lo
	v_bfe_u32 v23, v6, 20, 11
	v_cvt_f64_f32_e32 v[7:8], v7
	v_cndmask_b32_e64 v5, 0, 1, s0
	v_cmp_gt_i32_e64 s0, 31, v15
	v_cndmask_b32_e64 v24, 0, 1, s1
	v_and_or_b32 v18, 0xffe, v20, v18
	v_sub_nc_u32_e32 v20, 0x3f1, v23
	v_lshl_or_b32 v5, v5, 9, 0x7c00
	v_cndmask_b32_e64 v14, 0x7c00, v14, s0
	v_add_nc_u32_e32 v21, 0xfffffc10, v21
	v_cmp_eq_u32_e32 vcc_lo, 0x40f, v15
	v_or_b32_e32 v15, v22, v24
	v_or_b32_e32 v22, 0x1000, v18
	v_med3_i32 v20, v20, 0, 13
	v_lshl_or_b32 v24, v21, 12, v17
	v_cmp_gt_i32_e64 s0, 1, v21
	v_cndmask_b32_e32 v5, v14, v5, vcc_lo
	v_mul_f16_sdwa v1, v147, v1 dst_sel:DWORD dst_unused:UNUSED_PAD src0_sel:WORD_1 src1_sel:DWORD
	v_lshrrev_b32_e32 v14, v20, v22
	v_and_or_b32 v19, 0x8000, v19, v9
	v_cndmask_b32_e64 v15, v24, v15, s0
	v_add_co_u32 v9, vcc_lo, v11, s14
	v_lshlrev_b32_e32 v10, v20, v14
	v_fma_f16 v1, v147, v16, -v1
	v_mul_f64 v[7:8], v[7:8], s[16:17]
	v_and_b32_e32 v11, 7, v15
	v_add_nc_u32_e32 v20, 0xfffffc10, v23
	v_cmp_ne_u32_e64 s0, v10, v22
	v_cvt_f32_f16_e32 v1, v1
	v_add_co_ci_u32_e32 v10, vcc_lo, s11, v12, vcc_lo
	v_cmp_lt_i32_e32 vcc_lo, 5, v11
	v_cndmask_b32_e64 v16, 0, 1, s0
	v_cmp_eq_u32_e64 s0, 3, v11
	v_cvt_f64_f32_e32 v[11:12], v1
	v_lshrrev_b32_e32 v1, 2, v15
	v_lshl_or_b32 v15, v20, 12, v18
	v_or_b32_e32 v14, v14, v16
	s_or_b32 vcc_lo, s0, vcc_lo
	v_cmp_ne_u32_e64 s0, 0, v17
	v_cmp_gt_i32_e64 s1, 1, v20
	v_add_co_ci_u32_e32 v1, vcc_lo, 0, v1, vcc_lo
	v_cmp_gt_i32_e32 vcc_lo, 31, v21
	v_cndmask_b32_e64 v16, 0, 1, s0
	v_cndmask_b32_e64 v14, v15, v14, s1
	v_and_or_b32 v7, 0x1ff, v8, v7
	global_store_dword v[9:10], v13, off
	v_cndmask_b32_e32 v1, 0x7c00, v1, vcc_lo
	v_lshl_or_b32 v15, v16, 9, 0x7c00
	v_and_b32_e32 v16, 7, v14
	v_cmp_ne_u32_e64 s0, 0, v7
	v_and_b32_e32 v7, 0xffff, v19
	v_cmp_eq_u32_e32 vcc_lo, 0x40f, v21
	v_lshrrev_b32_e32 v19, 8, v8
	v_bfe_u32 v21, v8, 20, 11
	v_mul_f64 v[11:12], v[11:12], s[16:17]
	v_cndmask_b32_e64 v17, 0, 1, s0
	v_cndmask_b32_e32 v1, v1, v15, vcc_lo
	v_cmp_lt_i32_e32 vcc_lo, 5, v16
	v_sub_nc_u32_e32 v13, 0x3f1, v21
	v_cmp_eq_u32_e64 s0, 3, v16
	v_and_or_b32 v15, 0xffe, v19, v17
	v_lshrrev_b32_e32 v17, 16, v4
	v_lshrrev_b32_e32 v14, 2, v14
	v_med3_i32 v13, v13, 0, 13
	s_or_b32 vcc_lo, s0, vcc_lo
	v_or_b32_e32 v16, 0x1000, v15
	v_cmp_ne_u32_e64 s0, 0, v18
	v_mul_f16_sdwa v18, v144, v17 dst_sel:DWORD dst_unused:UNUSED_PAD src0_sel:WORD_1 src1_sel:DWORD
	v_add_co_ci_u32_e32 v14, vcc_lo, 0, v14, vcc_lo
	v_cmp_gt_i32_e32 vcc_lo, 31, v20
	v_cndmask_b32_e64 v19, 0, 1, s0
	v_lshrrev_b32_e32 v22, v13, v16
	v_fmac_f16_e32 v18, v144, v4
	v_lshrrev_b32_e32 v3, 16, v3
	v_cndmask_b32_e32 v14, 0x7c00, v14, vcc_lo
	v_and_or_b32 v11, 0x1ff, v12, v11
	v_lshl_or_b32 v19, v19, 9, 0x7c00
	v_cmp_eq_u32_e32 vcc_lo, 0x40f, v20
	v_lshlrev_b32_e32 v13, v13, v22
	v_cvt_f32_f16_e32 v18, v18
	v_cmp_ne_u32_e64 s0, 0, v11
	v_and_or_b32 v1, 0x8000, v3, v1
	v_cndmask_b32_e32 v3, v14, v19, vcc_lo
	v_cmp_ne_u32_e32 vcc_lo, v13, v16
	v_cvt_f64_f32_e32 v[13:14], v18
	v_cndmask_b32_e64 v11, 0, 1, s0
	v_lshrrev_b32_e32 v16, 8, v12
	v_bfe_u32 v18, v12, 20, 11
	v_cndmask_b32_e64 v19, 0, 1, vcc_lo
	v_add_nc_u32_e32 v20, 0xfffffc10, v21
	v_and_or_b32 v5, 0x8000, v25, v5
	v_and_or_b32 v11, 0xffe, v16, v11
	v_sub_nc_u32_e32 v16, 0x3f1, v18
	v_or_b32_e32 v19, v22, v19
	v_lshl_or_b32 v21, v20, 12, v15
	v_cmp_gt_i32_e32 vcc_lo, 1, v20
	v_or_b32_e32 v22, 0x1000, v11
	v_med3_i32 v16, v16, 0, 13
	v_lshrrev_b32_e32 v6, 16, v6
	v_mul_f16_sdwa v4, v144, v4 dst_sel:DWORD dst_unused:UNUSED_PAD src0_sel:WORD_1 src1_sel:DWORD
	v_lshl_or_b32 v23, v5, 16, v7
	v_cndmask_b32_e32 v7, v21, v19, vcc_lo
	v_lshrrev_b32_e32 v19, v16, v22
	v_and_or_b32 v3, 0x8000, v6, v3
	v_and_b32_e32 v1, 0xffff, v1
	v_fma_f16 v4, v144, v17, -v4
	v_mul_f64 v[13:14], v[13:14], s[16:17]
	v_lshlrev_b32_e32 v16, v16, v19
	v_add_co_u32 v5, vcc_lo, v9, s12
	v_and_b32_e32 v9, 7, v7
	v_lshl_or_b32 v1, v3, 16, v1
	v_cvt_f32_f16_e32 v3, v4
	v_add_co_ci_u32_e32 v6, vcc_lo, s13, v10, vcc_lo
	v_cmp_ne_u32_e32 vcc_lo, v16, v22
	v_cmp_lt_i32_e64 s0, 5, v9
	v_cmp_eq_u32_e64 s1, 3, v9
	v_cvt_f64_f32_e32 v[9:10], v3
	v_lshrrev_b32_e32 v4, 2, v7
	v_cndmask_b32_e64 v3, 0, 1, vcc_lo
	v_add_nc_u32_e32 v16, 0xfffffc10, v18
	s_or_b32 vcc_lo, s1, s0
	v_cmp_eq_u32_e64 s1, 0x40f, v20
	v_add_co_ci_u32_e32 v17, vcc_lo, 0, v4, vcc_lo
	v_cmp_ne_u32_e32 vcc_lo, 0, v15
	v_or_b32_e32 v7, v19, v3
	ds_read2_b32 v[3:4], v148 offset0:10 offset1:253
	v_and_or_b32 v13, 0x1ff, v14, v13
	v_lshl_or_b32 v15, v16, 12, v11
	v_cndmask_b32_e64 v18, 0, 1, vcc_lo
	v_cmp_gt_i32_e32 vcc_lo, 31, v20
	v_cmp_gt_i32_e64 s0, 1, v16
	v_lshrrev_b32_e32 v20, 8, v14
	v_bfe_u32 v21, v14, 20, 11
	v_lshrrev_b32_e32 v12, 16, v12
	v_cndmask_b32_e32 v17, 0x7c00, v17, vcc_lo
	v_cmp_ne_u32_e32 vcc_lo, 0, v13
	v_cndmask_b32_e64 v15, v15, v7, s0
	v_mul_f64 v[9:10], v[9:10], s[16:17]
	v_lshl_or_b32 v13, v18, 9, 0x7c00
	v_add_co_u32 v7, s0, v5, s14
	v_cndmask_b32_e64 v19, 0, 1, vcc_lo
	v_and_b32_e32 v18, 7, v15
	v_cndmask_b32_e64 v13, v17, v13, s1
	v_lshrrev_b32_e32 v15, 2, v15
	v_lshrrev_b32_e32 v17, 16, v8
	v_and_or_b32 v19, 0xffe, v20, v19
	s_waitcnt lgkmcnt(0)
	v_lshrrev_b32_e32 v20, 16, v3
	v_cmp_lt_i32_e32 vcc_lo, 5, v18
	v_cmp_eq_u32_e64 s1, 3, v18
	v_sub_nc_u32_e32 v8, 0x3f1, v21
	v_or_b32_e32 v18, 0x1000, v19
	v_mul_f16_sdwa v22, v143, v20 dst_sel:DWORD dst_unused:UNUSED_PAD src0_sel:WORD_1 src1_sel:DWORD
	v_add_nc_u32_e32 v21, 0xfffffc10, v21
	s_or_b32 vcc_lo, s1, vcc_lo
	v_cmp_gt_i32_e64 s1, 31, v16
	v_add_co_ci_u32_e32 v15, vcc_lo, 0, v15, vcc_lo
	v_fmac_f16_e32 v22, v143, v3
	v_med3_i32 v8, v8, 0, 13
	v_cmp_ne_u32_e32 vcc_lo, 0, v11
	v_cndmask_b32_e64 v25, 0x7c00, v15, s1
	v_and_or_b32 v9, 0x1ff, v10, v9
	v_cvt_f32_f16_e32 v15, v22
	v_lshrrev_b32_e32 v11, v8, v18
	v_cmp_eq_u32_e64 s1, 0x40f, v16
	v_cndmask_b32_e64 v24, 0, 1, vcc_lo
	v_cmp_ne_u32_e32 vcc_lo, 0, v9
	v_cvt_f64_f32_e32 v[15:16], v15
	v_lshlrev_b32_e32 v8, v8, v11
	v_bfe_u32 v22, v10, 20, 11
	v_lshl_or_b32 v9, v24, 9, 0x7c00
	v_and_or_b32 v13, 0x8000, v17, v13
	v_mul_f16_sdwa v3, v143, v3 dst_sel:DWORD dst_unused:UNUSED_PAD src0_sel:WORD_1 src1_sel:DWORD
	v_cmp_ne_u32_e64 s2, v8, v18
	v_cndmask_b32_e64 v8, 0, 1, vcc_lo
	v_lshrrev_b32_e32 v18, 8, v10
	v_cndmask_b32_e64 v9, v25, v9, s1
	v_cmp_gt_i32_e32 vcc_lo, 1, v21
	v_cndmask_b32_e64 v24, 0, 1, s2
	global_store_dword v[5:6], v23, off
	v_and_or_b32 v18, 0xffe, v18, v8
	v_sub_nc_u32_e32 v8, 0x3f1, v22
	v_and_or_b32 v9, 0x8000, v12, v9
	v_or_b32_e32 v11, v11, v24
	v_lshl_or_b32 v24, v21, 12, v19
	v_or_b32_e32 v25, 0x1000, v18
	v_med3_i32 v26, v8, 0, 13
	v_fma_f16 v3, v143, v20, -v3
	v_add_co_ci_u32_e64 v8, s0, s11, v6, s0
	v_cndmask_b32_e32 v24, v24, v11, vcc_lo
	v_lshrrev_b32_e32 v17, v26, v25
	v_mul_f64 v[11:12], v[15:16], s[16:17]
	v_and_b32_e32 v13, 0xffff, v13
	v_cvt_f32_f16_e32 v3, v3
	v_and_b32_e32 v5, 7, v24
	v_lshlrev_b32_e32 v15, v26, v17
	global_store_dword v[7:8], v1, off
	v_lshl_or_b32 v1, v9, 16, v13
	v_add_nc_u32_e32 v13, 0xfffffc10, v22
	v_cmp_lt_i32_e64 s0, 5, v5
	v_cmp_ne_u32_e32 vcc_lo, v15, v25
	v_cmp_eq_u32_e64 s1, 3, v5
	v_lshrrev_b32_e32 v9, 2, v24
	v_lshl_or_b32 v16, v13, 12, v18
	v_lshrrev_b32_e32 v14, 16, v14
	v_cndmask_b32_e64 v5, 0, 1, vcc_lo
	s_or_b32 vcc_lo, s1, s0
	v_cmp_ne_u32_e64 s0, 0, v19
	v_cmp_gt_i32_e64 s1, 1, v13
	v_add_co_ci_u32_e32 v9, vcc_lo, 0, v9, vcc_lo
	v_or_b32_e32 v15, v17, v5
	v_cvt_f64_f32_e32 v[5:6], v3
	v_and_or_b32 v3, 0x1ff, v12, v11
	v_cndmask_b32_e64 v11, 0, 1, s0
	v_cmp_gt_i32_e32 vcc_lo, 31, v21
	v_cndmask_b32_e64 v17, v16, v15, s1
	v_add_co_u32 v15, s1, v7, s14
	v_cmp_ne_u32_e64 s0, 0, v3
	v_cndmask_b32_e32 v3, 0x7c00, v9, vcc_lo
	v_lshl_or_b32 v7, v11, 9, 0x7c00
	v_and_b32_e32 v11, 7, v17
	v_cmp_eq_u32_e32 vcc_lo, 0x40f, v21
	v_cndmask_b32_e64 v9, 0, 1, s0
	v_lshrrev_b32_e32 v19, 8, v12
	v_bfe_u32 v20, v12, 20, 11
	v_add_co_ci_u32_e64 v16, s0, s11, v8, s1
	v_cndmask_b32_e32 v3, v3, v7, vcc_lo
	v_and_or_b32 v19, 0xffe, v19, v9
	v_sub_nc_u32_e32 v7, 0x3f1, v20
	v_cmp_lt_i32_e32 vcc_lo, 5, v11
	v_cmp_eq_u32_e64 s0, 3, v11
	v_lshrrev_b32_e32 v11, 16, v2
	v_mul_f64 v[8:9], v[5:6], s[16:17]
	v_or_b32_e32 v5, 0x1000, v19
	v_med3_i32 v6, v7, 0, 13
	v_lshrrev_b32_e32 v7, 2, v17
	v_mul_f16_sdwa v17, v142, v11 dst_sel:DWORD dst_unused:UNUSED_PAD src0_sel:WORD_1 src1_sel:DWORD
	s_or_b32 vcc_lo, s0, vcc_lo
	v_cmp_ne_u32_e64 s0, 0, v18
	v_lshrrev_b32_e32 v18, v6, v5
	v_add_co_ci_u32_e32 v7, vcc_lo, 0, v7, vcc_lo
	v_fmac_f16_e32 v17, v142, v2
	v_cmp_gt_i32_e32 vcc_lo, 31, v13
	v_lshlrev_b32_e32 v6, v6, v18
	v_cndmask_b32_e64 v21, 0, 1, s0
	v_cmp_eq_u32_e64 s0, 0x40f, v13
	v_cvt_f32_f16_e32 v17, v17
	v_cndmask_b32_e32 v7, 0x7c00, v7, vcc_lo
	v_cmp_ne_u32_e32 vcc_lo, v6, v5
	v_lshl_or_b32 v21, v21, 9, 0x7c00
	v_and_or_b32 v3, 0x8000, v14, v3
	v_cvt_f64_f32_e32 v[5:6], v17
	v_add_nc_u32_e32 v14, 0xfffffc10, v20
	v_and_or_b32 v8, 0x1ff, v9, v8
	v_cndmask_b32_e64 v13, 0, 1, vcc_lo
	v_cndmask_b32_e64 v7, v7, v21, s0
	v_bfe_u32 v20, v9, 20, 11
	v_and_b32_e32 v3, 0xffff, v3
	v_cmp_ne_u32_e32 vcc_lo, 0, v8
	v_lshrrev_b32_e32 v8, 16, v10
	v_or_b32_e32 v10, v18, v13
	v_lshl_or_b32 v13, v14, 12, v19
	v_lshrrev_b32_e32 v18, 8, v9
	v_cndmask_b32_e64 v17, 0, 1, vcc_lo
	v_cmp_gt_i32_e32 vcc_lo, 1, v14
	v_and_or_b32 v7, 0x8000, v8, v7
	v_sub_nc_u32_e32 v8, 0x3f1, v20
	global_store_dword v[15:16], v1, off
	v_and_or_b32 v17, 0xffe, v18, v17
	v_cndmask_b32_e32 v10, v13, v10, vcc_lo
	v_lshl_or_b32 v1, v7, 16, v3
	v_med3_i32 v13, v8, 0, 13
	v_mul_f16_sdwa v2, v142, v2 dst_sel:DWORD dst_unused:UNUSED_PAD src0_sel:WORD_1 src1_sel:DWORD
	v_mul_f64 v[7:8], v[5:6], s[16:17]
	v_add_co_u32 v5, vcc_lo, v15, s12
	v_or_b32_e32 v3, 0x1000, v17
	v_fma_f16 v2, v142, v11, -v2
	v_add_co_ci_u32_e32 v6, vcc_lo, s13, v16, vcc_lo
	v_and_b32_e32 v18, 7, v10
	v_lshrrev_b32_e32 v15, v13, v3
	v_cvt_f32_f16_e32 v11, v2
	global_store_dword v[5:6], v1, off
	ds_read2_b32 v[1:2], v145 offset0:2 offset1:245
	v_cmp_lt_i32_e32 vcc_lo, 5, v18
	v_cmp_eq_u32_e64 s0, 3, v18
	v_lshlrev_b32_e32 v13, v13, v15
	v_lshrrev_b32_e32 v16, 2, v10
	v_cvt_f64_f32_e32 v[10:11], v11
	v_lshrrev_b32_e32 v9, 16, v9
	s_or_b32 vcc_lo, s0, vcc_lo
	v_cmp_ne_u32_e64 s1, v13, v3
	v_add_co_ci_u32_e32 v3, vcc_lo, 0, v16, vcc_lo
	v_cmp_ne_u32_e32 vcc_lo, 0, v19
	v_and_or_b32 v7, 0x1ff, v8, v7
	v_cndmask_b32_e64 v13, 0, 1, s1
	v_add_nc_u32_e32 v16, 0xfffffc10, v20
	v_cmp_gt_i32_e64 s0, 31, v14
	v_cndmask_b32_e64 v18, 0, 1, vcc_lo
	v_cmp_ne_u32_e32 vcc_lo, 0, v7
	v_or_b32_e32 v13, v15, v13
	v_lshl_or_b32 v7, v16, 12, v17
	v_cndmask_b32_e64 v3, 0x7c00, v3, s0
	v_lshl_or_b32 v15, v18, 9, 0x7c00
	v_cmp_gt_i32_e64 s0, 1, v16
	v_cndmask_b32_e64 v18, 0, 1, vcc_lo
	v_lshrrev_b32_e32 v19, 8, v8
	v_bfe_u32 v20, v8, 20, 11
	s_waitcnt lgkmcnt(0)
	v_lshrrev_b32_e32 v21, 16, v1
	v_cndmask_b32_e64 v7, v7, v13, s0
	v_mul_f64 v[10:11], v[10:11], s[16:17]
	v_and_or_b32 v18, 0xffe, v19, v18
	v_sub_nc_u32_e32 v13, 0x3f1, v20
	v_mul_f16_sdwa v19, v141, v21 dst_sel:DWORD dst_unused:UNUSED_PAD src0_sel:WORD_1 src1_sel:DWORD
	v_and_b32_e32 v22, 7, v7
	v_cmp_eq_u32_e32 vcc_lo, 0x40f, v14
	v_or_b32_e32 v23, 0x1000, v18
	v_med3_i32 v13, v13, 0, 13
	v_fmac_f16_e32 v19, v141, v1
	v_cmp_lt_i32_e64 s0, 5, v22
	v_cmp_eq_u32_e64 s1, 3, v22
	v_cndmask_b32_e32 v3, v3, v15, vcc_lo
	v_lshrrev_b32_e32 v15, v13, v23
	v_cvt_f32_f16_e32 v14, v19
	v_lshrrev_b32_e32 v7, 2, v7
	s_or_b32 vcc_lo, s1, s0
	v_cmp_ne_u32_e64 s0, 0, v17
	v_lshlrev_b32_e32 v17, v13, v15
	v_cvt_f64_f32_e32 v[13:14], v14
	v_add_co_ci_u32_e32 v7, vcc_lo, 0, v7, vcc_lo
	v_cmp_gt_i32_e32 vcc_lo, 31, v16
	v_and_or_b32 v10, 0x1ff, v11, v10
	v_cndmask_b32_e64 v19, 0, 1, s0
	v_cmp_ne_u32_e64 s0, v17, v23
	v_lshrrev_b32_e32 v17, 16, v12
	v_cndmask_b32_e32 v7, 0x7c00, v7, vcc_lo
	v_cmp_ne_u32_e32 vcc_lo, 0, v10
	v_lshl_or_b32 v10, v19, 9, 0x7c00
	v_cndmask_b32_e64 v12, 0, 1, s0
	v_add_nc_u32_e32 v19, 0xfffffc10, v20
	v_cmp_eq_u32_e64 s0, 0x40f, v16
	v_cndmask_b32_e64 v16, 0, 1, vcc_lo
	v_lshrrev_b32_e32 v20, 8, v11
	v_bfe_u32 v22, v11, 20, 11
	v_or_b32_e32 v15, v15, v12
	v_lshl_or_b32 v23, v19, 12, v18
	v_cmp_gt_i32_e32 vcc_lo, 1, v19
	v_and_or_b32 v16, 0xffe, v20, v16
	v_sub_nc_u32_e32 v20, 0x3f1, v22
	v_mul_f64 v[12:13], v[13:14], s[16:17]
	v_mul_f16_sdwa v1, v141, v1 dst_sel:DWORD dst_unused:UNUSED_PAD src0_sel:WORD_1 src1_sel:DWORD
	v_cndmask_b32_e64 v7, v7, v10, s0
	v_cndmask_b32_e32 v14, v23, v15, vcc_lo
	v_or_b32_e32 v15, 0x1000, v16
	v_med3_i32 v10, v20, 0, 13
	v_fma_f16 v1, v141, v21, -v1
	v_and_or_b32 v3, 0x8000, v17, v3
	v_and_or_b32 v7, 0x8000, v9, v7
	v_and_b32_e32 v17, 7, v14
	v_lshrrev_b32_e32 v20, v10, v15
	v_cvt_f32_f16_e32 v9, v1
	v_and_b32_e32 v3, 0xffff, v3
	v_lshrrev_b32_e32 v8, 16, v8
	v_cmp_lt_i32_e32 vcc_lo, 5, v17
	v_lshlrev_b32_e32 v21, v10, v20
	v_cvt_f64_f32_e32 v[9:10], v9
	v_cmp_eq_u32_e64 s0, 3, v17
	v_lshl_or_b32 v1, v7, 16, v3
	v_lshrrev_b32_e32 v3, 2, v14
	v_cmp_ne_u32_e64 s1, v21, v15
	v_add_nc_u32_e32 v17, 0xfffffc10, v22
	v_and_or_b32 v7, 0x1ff, v13, v12
	s_or_b32 vcc_lo, s0, vcc_lo
	v_cmp_gt_i32_e64 s0, 31, v19
	v_add_co_ci_u32_e32 v3, vcc_lo, 0, v3, vcc_lo
	v_cndmask_b32_e64 v12, 0, 1, s1
	v_cmp_ne_u32_e64 s1, 0, v7
	v_lshrrev_b32_e32 v15, 8, v13
	v_cndmask_b32_e64 v3, 0x7c00, v3, s0
	v_cmp_ne_u32_e64 s0, 0, v18
	v_or_b32_e32 v7, v20, v12
	v_cndmask_b32_e64 v14, 0, 1, s1
	v_bfe_u32 v20, v13, 20, 11
	v_lshrrev_b32_e32 v18, 16, v4
	v_lshl_or_b32 v12, v17, 12, v16
	v_cmp_gt_i32_e64 s1, 1, v17
	v_and_or_b32 v21, 0xffe, v15, v14
	v_sub_nc_u32_e32 v14, 0x3f1, v20
	v_mul_f16_sdwa v15, v139, v18 dst_sel:DWORD dst_unused:UNUSED_PAD src0_sel:WORD_1 src1_sel:DWORD
	v_mul_f64 v[9:10], v[9:10], s[16:17]
	v_cndmask_b32_e64 v7, v12, v7, s1
	v_cndmask_b32_e64 v12, 0, 1, s0
	v_or_b32_e32 v22, 0x1000, v21
	v_med3_i32 v14, v14, 0, 13
	v_fmac_f16_e32 v15, v139, v4
	v_cmp_eq_u32_e64 s0, 0x40f, v19
	v_lshl_or_b32 v12, v12, 9, 0x7c00
	v_and_b32_e32 v23, 7, v7
	v_lshrrev_b32_e32 v19, v14, v22
	v_cvt_f32_f16_e32 v15, v15
	v_lshrrev_b32_e32 v7, 2, v7
	v_cndmask_b32_e64 v3, v3, v12, s0
	v_cmp_lt_i32_e64 s1, 5, v23
	v_lshlrev_b32_e32 v12, v14, v19
	v_cvt_f64_f32_e32 v[14:15], v15
	v_cmp_eq_u32_e64 s2, 3, v23
	v_mul_f16_sdwa v4, v139, v4 dst_sel:DWORD dst_unused:UNUSED_PAD src0_sel:WORD_1 src1_sel:DWORD
	v_lshrrev_b32_e32 v11, 16, v11
	v_and_or_b32 v3, 0x8000, v8, v3
	v_add_co_u32 v5, vcc_lo, v5, s14
	v_and_or_b32 v9, 0x1ff, v10, v9
	s_or_b32 s0, s2, s1
	v_cmp_ne_u32_e64 s1, 0, v16
	v_cmp_ne_u32_e64 s2, v12, v22
	v_add_nc_u32_e32 v16, 0xfffffc10, v20
	v_cmp_ne_u32_e64 s3, 0, v9
	v_lshrrev_b32_e32 v22, 8, v10
	v_bfe_u32 v23, v10, 20, 11
	v_add_co_ci_u32_e64 v7, s0, 0, v7, s0
	v_cndmask_b32_e64 v20, 0, 1, s3
	v_cmp_gt_i32_e64 s0, 31, v17
	v_cndmask_b32_e64 v9, 0, 1, s1
	v_cndmask_b32_e64 v12, 0, 1, s2
	v_cmp_gt_i32_e64 s1, 1, v16
	v_mul_f64 v[14:15], v[14:15], s[16:17]
	v_and_or_b32 v20, 0xffe, v22, v20
	v_sub_nc_u32_e32 v22, 0x3f1, v23
	v_cndmask_b32_e64 v7, 0x7c00, v7, s0
	v_lshl_or_b32 v9, v9, 9, 0x7c00
	v_or_b32_e32 v12, v19, v12
	v_lshl_or_b32 v19, v16, 12, v21
	v_cmp_eq_u32_e64 s0, 0x40f, v17
	v_or_b32_e32 v17, 0x1000, v20
	v_med3_i32 v22, v22, 0, 13
	v_fma_f16 v4, v139, v18, -v4
	v_and_b32_e32 v18, 0xffff, v3
	v_cndmask_b32_e64 v7, v7, v9, s0
	v_cndmask_b32_e64 v9, v19, v12, s1
	v_lshrrev_b32_e32 v12, v22, v17
	v_cvt_f32_f16_e32 v3, v4
	v_add_co_ci_u32_e32 v6, vcc_lo, s11, v6, vcc_lo
	v_and_b32_e32 v8, 7, v9
	v_and_or_b32 v11, 0x8000, v11, v7
	v_lshlrev_b32_e32 v7, v22, v12
	v_lshrrev_b32_e32 v4, 2, v9
	v_and_or_b32 v9, 0x1ff, v15, v14
	v_cmp_lt_i32_e64 s0, 5, v8
	v_cmp_eq_u32_e64 s1, 3, v8
	v_cmp_ne_u32_e64 s2, v7, v17
	v_cvt_f64_f32_e32 v[7:8], v3
	v_add_nc_u32_e32 v17, 0xfffffc10, v23
	v_lshrrev_b32_e32 v14, 8, v15
	s_or_b32 s0, s1, s0
	v_cndmask_b32_e64 v3, 0, 1, s2
	v_cmp_ne_u32_e64 s1, 0, v9
	v_add_co_ci_u32_e64 v9, s0, 0, v4, s0
	v_lshl_or_b32 v4, v17, 12, v20
	v_or_b32_e32 v3, v12, v3
	v_cndmask_b32_e64 v12, 0, 1, s1
	v_cmp_gt_i32_e64 s1, 1, v17
	v_cmp_ne_u32_e64 s0, 0, v21
	v_bfe_u32 v21, v15, 20, 11
	v_lshl_or_b32 v18, v11, 16, v18
	v_and_or_b32 v23, 0xffe, v14, v12
	v_cndmask_b32_e64 v22, v4, v3, s1
	ds_read2_b32 v[3:4], v146 offset0:8 offset1:251
	v_cndmask_b32_e64 v19, 0, 1, s0
	v_sub_nc_u32_e32 v12, 0x3f1, v21
	v_cmp_gt_i32_e64 s0, 31, v16
	v_add_co_u32 v11, s1, v5, s14
	v_mul_f64 v[7:8], v[7:8], s[16:17]
	v_lshl_or_b32 v14, v19, 9, 0x7c00
	v_or_b32_e32 v19, 0x1000, v23
	v_med3_i32 v12, v12, 0, 13
	v_cndmask_b32_e64 v9, 0x7c00, v9, s0
	v_cmp_eq_u32_e64 s0, 0x40f, v16
	v_and_b32_e32 v16, 7, v22
	v_lshrrev_b32_e32 v13, 16, v13
	v_lshrrev_b32_e32 v24, v12, v19
	v_add_nc_u32_e32 v21, 0xfffffc10, v21
	v_cndmask_b32_e64 v9, v9, v14, s0
	v_cmp_lt_i32_e32 vcc_lo, 5, v16
	v_cmp_eq_u32_e64 s0, 3, v16
	v_lshlrev_b32_e32 v14, v12, v24
	s_waitcnt lgkmcnt(0)
	v_lshrrev_b32_e32 v16, 16, v3
	v_add_co_ci_u32_e64 v12, s1, s11, v6, s1
	v_and_or_b32 v9, 0x8000, v13, v9
	v_cmp_ne_u32_e64 s1, v14, v19
	v_mul_f16_sdwa v14, v137, v16 dst_sel:DWORD dst_unused:UNUSED_PAD src0_sel:WORD_1 src1_sel:DWORD
	v_lshrrev_b32_e32 v19, 2, v22
	s_or_b32 vcc_lo, s0, vcc_lo
	v_and_or_b32 v7, 0x1ff, v8, v7
	v_cndmask_b32_e64 v13, 0, 1, s1
	v_fmac_f16_e32 v14, v137, v3
	v_lshrrev_b32_e32 v25, 8, v8
	v_bfe_u32 v26, v8, 20, 11
	v_cmp_ne_u32_e64 s1, 0, v7
	v_or_b32_e32 v7, v24, v13
	v_cvt_f32_f16_e32 v13, v14
	v_lshl_or_b32 v22, v21, 12, v23
	v_cmp_gt_i32_e64 s0, 1, v21
	v_cndmask_b32_e64 v24, 0, 1, s1
	v_add_co_ci_u32_e32 v19, vcc_lo, 0, v19, vcc_lo
	v_cvt_f64_f32_e32 v[13:14], v13
	v_cmp_ne_u32_e32 vcc_lo, 0, v20
	v_and_or_b32 v24, 0xffe, v25, v24
	v_sub_nc_u32_e32 v25, 0x3f1, v26
	v_cndmask_b32_e64 v7, v22, v7, s0
	v_mul_f16_sdwa v3, v137, v3 dst_sel:DWORD dst_unused:UNUSED_PAD src0_sel:WORD_1 src1_sel:DWORD
	v_cmp_gt_i32_e64 s0, 31, v17
	v_or_b32_e32 v20, 0x1000, v24
	v_med3_i32 v22, v25, 0, 13
	v_cndmask_b32_e64 v25, 0, 1, vcc_lo
	v_fma_f16 v3, v137, v16, -v3
	v_cndmask_b32_e64 v19, 0x7c00, v19, s0
	v_cmp_eq_u32_e32 vcc_lo, 0x40f, v17
	v_lshrrev_b32_e32 v28, v22, v20
	v_lshl_or_b32 v25, v25, 9, 0x7c00
	v_cvt_f32_f16_e32 v3, v3
	v_and_b32_e32 v27, 7, v7
	v_lshrrev_b32_e32 v7, 2, v7
	v_lshlrev_b32_e32 v16, v22, v28
	v_cndmask_b32_e32 v19, v19, v25, vcc_lo
	v_lshrrev_b32_e32 v10, 16, v10
	v_cmp_lt_i32_e64 s0, 5, v27
	v_mul_f64 v[13:14], v[13:14], s[16:17]
	v_cmp_ne_u32_e32 vcc_lo, v16, v20
	v_cvt_f64_f32_e32 v[16:17], v3
	v_cmp_eq_u32_e64 s1, 3, v27
	v_add_nc_u32_e32 v20, 0xfffffc10, v26
	v_and_or_b32 v19, 0x8000, v10, v19
	v_cndmask_b32_e64 v3, 0, 1, vcc_lo
	global_store_dword v[5:6], v1, off
	s_or_b32 s0, s1, s0
	v_cmp_ne_u32_e64 s1, 0, v23
	v_add_co_ci_u32_e64 v7, vcc_lo, 0, v7, s0
	v_cmp_gt_i32_e32 vcc_lo, 31, v21
	v_or_b32_e32 v3, v28, v3
	v_cndmask_b32_e64 v22, 0, 1, s1
	v_lshl_or_b32 v23, v20, 12, v24
	v_cmp_gt_i32_e64 s0, 1, v20
	v_cndmask_b32_e32 v7, 0x7c00, v7, vcc_lo
	v_cmp_eq_u32_e32 vcc_lo, 0x40f, v21
	v_lshl_or_b32 v22, v22, 9, 0x7c00
	v_and_b32_e32 v21, 0xffff, v9
	v_cndmask_b32_e64 v3, v23, v3, s0
	v_and_or_b32 v13, 0x1ff, v14, v13
	v_lshrrev_b32_e32 v5, 8, v14
	v_mul_f64 v[9:10], v[16:17], s[16:17]
	v_cndmask_b32_e32 v7, v7, v22, vcc_lo
	v_and_b32_e32 v22, 7, v3
	v_cmp_ne_u32_e32 vcc_lo, 0, v13
	v_lshrrev_b32_e32 v13, 16, v15
	v_bfe_u32 v15, v14, 20, 11
	v_lshrrev_b32_e32 v16, 16, v2
	v_cmp_lt_i32_e64 s0, 5, v22
	v_cndmask_b32_e64 v1, 0, 1, vcc_lo
	v_cmp_eq_u32_e64 s1, 3, v22
	v_lshrrev_b32_e32 v3, 2, v3
	v_mul_f16_sdwa v6, v138, v16 dst_sel:DWORD dst_unused:UNUSED_PAD src0_sel:WORD_1 src1_sel:DWORD
	global_store_dword v[11:12], v18, off
	v_and_or_b32 v1, 0xffe, v5, v1
	v_sub_nc_u32_e32 v5, 0x3f1, v15
	s_or_b32 vcc_lo, s1, s0
	v_fmac_f16_e32 v6, v138, v2
	v_add_co_ci_u32_e32 v3, vcc_lo, 0, v3, vcc_lo
	v_cmp_ne_u32_e32 vcc_lo, 0, v24
	v_or_b32_e32 v17, 0x1000, v1
	v_med3_i32 v5, v5, 0, 13
	v_and_or_b32 v9, 0x1ff, v10, v9
	v_cvt_f32_f16_e32 v6, v6
	v_cndmask_b32_e64 v18, 0, 1, vcc_lo
	v_cmp_gt_i32_e64 s0, 31, v20
	v_lshrrev_b32_e32 v22, v5, v17
	v_cmp_ne_u32_e32 vcc_lo, 0, v9
	v_lshrrev_b32_e32 v23, 8, v10
	v_lshl_or_b32 v9, v18, 9, 0x7c00
	v_cndmask_b32_e64 v3, 0x7c00, v3, s0
	v_lshlrev_b32_e32 v18, v5, v22
	v_cvt_f64_f32_e32 v[5:6], v6
	v_cmp_eq_u32_e64 s0, 0x40f, v20
	v_cndmask_b32_e64 v20, 0, 1, vcc_lo
	v_bfe_u32 v24, v10, 20, 11
	v_cmp_ne_u32_e32 vcc_lo, v18, v17
	v_and_or_b32 v7, 0x8000, v13, v7
	v_cndmask_b32_e64 v3, v3, v9, s0
	v_and_or_b32 v13, 0xffe, v23, v20
	v_sub_nc_u32_e32 v9, 0x3f1, v24
	v_cndmask_b32_e64 v17, 0, 1, vcc_lo
	v_lshrrev_b32_e32 v8, 16, v8
	v_and_b32_e32 v23, 0xffff, v7
	v_or_b32_e32 v18, 0x1000, v13
	v_med3_i32 v9, v9, 0, 13
	v_mul_f16_sdwa v7, v138, v2 dst_sel:DWORD dst_unused:UNUSED_PAD src0_sel:WORD_1 src1_sel:DWORD
	v_add_nc_u32_e32 v15, 0xfffffc10, v15
	v_or_b32_e32 v17, v22, v17
	v_lshl_or_b32 v19, v19, 16, v21
	v_lshrrev_b32_e32 v21, v9, v18
	v_and_or_b32 v22, 0x8000, v8, v3
	v_fma_f16 v7, v138, v16, -v7
	v_lshl_or_b32 v20, v15, 12, v1
	v_mul_f64 v[2:3], v[5:6], s[16:17]
	v_cmp_gt_i32_e32 vcc_lo, 1, v15
	v_lshlrev_b32_e32 v8, v9, v21
	v_cvt_f32_f16_e32 v7, v7
	v_add_nc_u32_e32 v16, 0xfffffc10, v24
	v_lshrrev_b32_e32 v14, 16, v14
	v_cndmask_b32_e32 v17, v20, v17, vcc_lo
	v_cmp_ne_u32_e64 s0, v8, v18
	v_cvt_f64_f32_e32 v[7:8], v7
	v_add_co_u32 v5, vcc_lo, v11, s12
	v_and_b32_e32 v9, 7, v17
	v_add_co_ci_u32_e32 v6, vcc_lo, s13, v12, vcc_lo
	v_cndmask_b32_e64 v11, 0, 1, s0
	v_lshl_or_b32 v12, v16, 12, v13
	v_cmp_lt_i32_e32 vcc_lo, 5, v9
	v_cmp_eq_u32_e64 s0, 3, v9
	v_lshrrev_b32_e32 v9, 2, v17
	v_or_b32_e32 v11, v21, v11
	v_cmp_gt_i32_e64 s1, 1, v16
	global_store_dword v[5:6], v19, off
	s_or_b32 vcc_lo, s0, vcc_lo
	v_cmp_ne_u32_e64 s0, 0, v1
	v_and_or_b32 v17, 0x1ff, v3, v2
	ds_read2_b32 v[1:2], v140 offset1:243
	v_add_co_ci_u32_e32 v9, vcc_lo, 0, v9, vcc_lo
	v_cndmask_b32_e64 v18, 0, 1, s0
	v_cmp_ne_u32_e64 s0, 0, v17
	v_cmp_gt_i32_e32 vcc_lo, 31, v15
	v_cndmask_b32_e64 v11, v12, v11, s1
	v_lshl_or_b32 v17, v22, 16, v23
	v_lshrrev_b32_e32 v22, 8, v3
	v_cndmask_b32_e64 v21, 0, 1, s0
	v_bfe_u32 v23, v3, 20, 11
	v_mul_f64 v[7:8], v[7:8], s[16:17]
	v_cndmask_b32_e32 v12, 0x7c00, v9, vcc_lo
	v_lshl_or_b32 v18, v18, 9, 0x7c00
	v_and_b32_e32 v20, 7, v11
	v_cmp_eq_u32_e32 vcc_lo, 0x40f, v15
	v_and_or_b32 v15, 0xffe, v22, v21
	v_sub_nc_u32_e32 v21, 0x3f1, v23
	v_lshrrev_b32_e32 v11, 2, v11
	v_cmp_eq_u32_e64 s1, 3, v20
	v_cndmask_b32_e32 v18, v12, v18, vcc_lo
	v_cmp_lt_i32_e32 vcc_lo, 5, v20
	v_or_b32_e32 v12, 0x1000, v15
	v_med3_i32 v20, v21, 0, 13
	s_waitcnt lgkmcnt(0)
	v_lshrrev_b32_e32 v21, 16, v1
	v_add_nc_u32_e32 v23, 0xfffffc10, v23
	s_or_b32 vcc_lo, s1, vcc_lo
	v_cmp_gt_i32_e64 s1, 31, v16
	v_lshrrev_b32_e32 v22, v20, v12
	v_mul_f16_sdwa v24, v136, v21 dst_sel:DWORD dst_unused:UNUSED_PAD src0_sel:WORD_1 src1_sel:DWORD
	v_add_co_ci_u32_e32 v11, vcc_lo, 0, v11, vcc_lo
	v_cmp_ne_u32_e32 vcc_lo, 0, v13
	v_lshlrev_b32_e32 v13, v20, v22
	v_fmac_f16_e32 v24, v136, v1
	v_and_or_b32 v7, 0x1ff, v8, v7
	v_lshrrev_b32_e32 v25, 8, v8
	v_cndmask_b32_e64 v20, 0, 1, vcc_lo
	v_cmp_ne_u32_e32 vcc_lo, v13, v12
	v_cvt_f32_f16_e32 v12, v24
	v_cmp_ne_u32_e64 s2, 0, v7
	v_cndmask_b32_e64 v7, 0x7c00, v11, s1
	v_lshl_or_b32 v13, v20, 9, 0x7c00
	v_cndmask_b32_e64 v20, 0, 1, vcc_lo
	v_cvt_f64_f32_e32 v[11:12], v12
	v_cndmask_b32_e64 v24, 0, 1, s2
	v_bfe_u32 v26, v8, 20, 11
	v_cmp_eq_u32_e32 vcc_lo, 0x40f, v16
	v_or_b32_e32 v16, v22, v20
	v_cmp_gt_i32_e64 s1, 1, v23
	v_and_or_b32 v20, 0xffe, v25, v24
	v_sub_nc_u32_e32 v22, 0x3f1, v26
	v_lshl_or_b32 v24, v23, 12, v15
	v_cndmask_b32_e32 v7, v7, v13, vcc_lo
	v_mul_f16_sdwa v1, v136, v1 dst_sel:DWORD dst_unused:UNUSED_PAD src0_sel:WORD_1 src1_sel:DWORD
	v_or_b32_e32 v13, 0x1000, v20
	v_med3_i32 v22, v22, 0, 13
	v_cndmask_b32_e64 v16, v24, v16, s1
	v_and_or_b32 v14, 0x8000, v14, v18
	v_add_co_u32 v9, s0, v5, s14
	v_lshrrev_b32_e32 v24, v22, v13
	v_and_b32_e32 v18, 7, v16
	v_fma_f16 v1, v136, v21, -v1
	v_lshrrev_b32_e32 v25, 16, v10
	v_add_co_ci_u32_e64 v10, vcc_lo, s11, v6, s0
	v_mul_f64 v[11:12], v[11:12], s[16:17]
	v_lshlrev_b32_e32 v22, v22, v24
	v_cmp_lt_i32_e32 vcc_lo, 5, v18
	v_cmp_eq_u32_e64 s0, 3, v18
	v_lshrrev_b32_e32 v5, 2, v16
	v_cvt_f32_f16_e32 v1, v1
	v_cmp_ne_u32_e64 s1, v22, v13
	v_add_nc_u32_e32 v18, 0xfffffc10, v26
	s_or_b32 vcc_lo, s0, vcc_lo
	v_and_or_b32 v7, 0x8000, v25, v7
	v_add_co_ci_u32_e32 v13, vcc_lo, 0, v5, vcc_lo
	v_cndmask_b32_e64 v6, 0, 1, s1
	v_cmp_ne_u32_e32 vcc_lo, 0, v15
	v_lshl_or_b32 v16, v18, 12, v20
	v_cmp_gt_i32_e64 s1, 1, v18
	v_and_b32_e32 v14, 0xffff, v14
	v_or_b32_e32 v15, v24, v6
	v_cvt_f64_f32_e32 v[5:6], v1
	v_lshrrev_b32_e32 v24, 16, v4
	v_cmp_gt_i32_e64 s0, 31, v23
	v_lshl_or_b32 v19, v7, 16, v14
	v_and_or_b32 v1, 0x1ff, v12, v11
	v_cndmask_b32_e64 v11, 0, 1, vcc_lo
	v_cndmask_b32_e64 v15, v16, v15, s1
	v_lshrrev_b32_e32 v21, 8, v12
	v_bfe_u32 v22, v12, 20, 11
	v_cmp_ne_u32_e32 vcc_lo, 0, v1
	v_lshl_or_b32 v1, v11, 9, 0x7c00
	v_and_b32_e32 v11, 7, v15
	v_mul_f16_sdwa v25, v134, v24 dst_sel:DWORD dst_unused:UNUSED_PAD src0_sel:WORD_1 src1_sel:DWORD
	v_cndmask_b32_e64 v7, 0x7c00, v13, s0
	v_cndmask_b32_e64 v16, 0, 1, vcc_lo
	v_add_co_u32 v13, s0, v9, s14
	v_add_co_ci_u32_e64 v14, vcc_lo, s11, v10, s0
	v_and_or_b32 v21, 0xffe, v21, v16
	v_sub_nc_u32_e32 v16, 0x3f1, v22
	v_cmp_lt_i32_e32 vcc_lo, 5, v11
	v_mul_f64 v[5:6], v[5:6], s[16:17]
	v_cmp_eq_u32_e64 s0, 3, v11
	v_lshrrev_b32_e32 v11, 2, v15
	v_or_b32_e32 v26, 0x1000, v21
	v_med3_i32 v15, v16, 0, 13
	v_fmac_f16_e32 v25, v134, v4
	v_cmp_ne_u32_e64 s1, 0, v20
	s_or_b32 vcc_lo, s0, vcc_lo
	v_cmp_eq_u32_e64 s0, 0x40f, v23
	v_lshrrev_b32_e32 v20, v15, v26
	v_cvt_f32_f16_e32 v25, v25
	v_cndmask_b32_e64 v16, 0, 1, s1
	v_add_co_ci_u32_e32 v11, vcc_lo, 0, v11, vcc_lo
	v_lshlrev_b32_e32 v27, v15, v20
	v_cmp_gt_i32_e32 vcc_lo, 31, v18
	v_lshl_or_b32 v23, v16, 9, 0x7c00
	v_cvt_f64_f32_e32 v[15:16], v25
	v_cndmask_b32_e64 v1, v7, v1, s0
	v_lshrrev_b32_e32 v8, 16, v8
	v_cndmask_b32_e32 v11, 0x7c00, v11, vcc_lo
	v_cmp_eq_u32_e32 vcc_lo, 0x40f, v18
	v_and_or_b32 v5, 0x1ff, v6, v5
	v_lshrrev_b32_e32 v3, 16, v3
	v_cmp_ne_u32_e64 s0, v27, v26
	v_bfe_u32 v18, v6, 20, 11
	v_cndmask_b32_e32 v7, v11, v23, vcc_lo
	v_cmp_ne_u32_e32 vcc_lo, 0, v5
	v_and_or_b32 v1, 0x8000, v3, v1
	v_cndmask_b32_e64 v3, 0, 1, s0
	v_add_nc_u32_e32 v5, 0xfffffc10, v22
	v_and_or_b32 v11, 0x8000, v8, v7
	v_cndmask_b32_e64 v7, 0, 1, vcc_lo
	v_lshrrev_b32_e32 v8, 8, v6
	v_or_b32_e32 v3, v20, v3
	v_lshl_or_b32 v20, v5, 12, v21
	v_cmp_gt_i32_e32 vcc_lo, 1, v5
	v_sub_nc_u32_e32 v23, 0x3f1, v18
	v_and_or_b32 v22, 0xffe, v8, v7
	v_mul_f64 v[7:8], v[15:16], s[16:17]
	v_and_b32_e32 v1, 0xffff, v1
	v_cndmask_b32_e32 v15, v20, v3, vcc_lo
	v_med3_i32 v20, v23, 0, 13
	v_or_b32_e32 v16, 0x1000, v22
	global_store_dword v[9:10], v17, off
	global_store_dword v[13:14], v19, off
	v_mul_f16_sdwa v10, v134, v4 dst_sel:DWORD dst_unused:UNUSED_PAD src0_sel:WORD_1 src1_sel:DWORD
	v_lshl_or_b32 v1, v11, 16, v1
	v_and_b32_e32 v9, 7, v15
	v_lshrrev_b32_e32 v11, v20, v16
	v_add_co_u32 v3, vcc_lo, v13, s12
	v_fma_f16 v10, v134, v24, -v10
	v_add_co_ci_u32_e32 v4, vcc_lo, s13, v14, vcc_lo
	v_lshlrev_b32_e32 v13, v20, v11
	v_cmp_lt_i32_e32 vcc_lo, 5, v9
	v_cmp_eq_u32_e64 s0, 3, v9
	v_cvt_f32_f16_e32 v9, v10
	global_store_dword v[3:4], v1, off
	v_cmp_ne_u32_e64 s1, v13, v16
	v_lshrrev_b32_e32 v1, 2, v15
	v_and_or_b32 v7, 0x1ff, v8, v7
	v_cvt_f64_f32_e32 v[9:10], v9
	s_or_b32 vcc_lo, s0, vcc_lo
	v_cndmask_b32_e64 v13, 0, 1, s1
	v_add_nc_u32_e32 v15, 0xfffffc10, v18
	v_cmp_ne_u32_e64 s0, 0, v7
	v_lshrrev_b32_e32 v16, 16, v0
	v_lshrrev_b32_e32 v14, 8, v8
	v_or_b32_e32 v7, v11, v13
	v_lshl_or_b32 v11, v15, 12, v22
	v_cndmask_b32_e64 v13, 0, 1, s0
	v_bfe_u32 v17, v8, 20, 11
	v_cmp_gt_i32_e64 s0, 1, v15
	v_mul_f16_sdwa v18, v135, v16 dst_sel:DWORD dst_unused:UNUSED_PAD src0_sel:WORD_1 src1_sel:DWORD
	v_add_co_ci_u32_e32 v1, vcc_lo, 0, v1, vcc_lo
	v_cmp_gt_i32_e32 vcc_lo, 31, v5
	v_and_or_b32 v19, 0xffe, v14, v13
	v_sub_nc_u32_e32 v13, 0x3f1, v17
	v_cndmask_b32_e64 v7, v11, v7, s0
	v_fmac_f16_e32 v18, v135, v0
	v_cndmask_b32_e32 v1, 0x7c00, v1, vcc_lo
	v_cmp_ne_u32_e32 vcc_lo, 0, v21
	v_med3_i32 v20, v13, 0, 13
	v_and_b32_e32 v13, 7, v7
	v_cvt_f32_f16_e32 v14, v18
	v_mul_f64 v[9:10], v[9:10], s[16:17]
	v_cndmask_b32_e64 v18, 0, 1, vcc_lo
	v_or_b32_e32 v11, 0x1000, v19
	v_cmp_lt_i32_e32 vcc_lo, 5, v13
	v_cmp_eq_u32_e64 s0, 3, v13
	v_cvt_f64_f32_e32 v[13:14], v14
	v_cmp_eq_u32_e64 s1, 0x40f, v5
	v_lshrrev_b32_e32 v21, v20, v11
	v_lshrrev_b32_e32 v5, 2, v7
	s_or_b32 vcc_lo, s0, vcc_lo
	v_cmp_ne_u32_e64 s0, 0, v22
	v_lshl_or_b32 v18, v18, 9, 0x7c00
	v_lshlrev_b32_e32 v20, v20, v21
	v_add_co_ci_u32_e32 v5, vcc_lo, 0, v5, vcc_lo
	v_cmp_gt_i32_e32 vcc_lo, 31, v15
	v_cndmask_b32_e64 v7, 0, 1, s0
	v_cmp_ne_u32_e64 s2, v20, v11
	v_cndmask_b32_e64 v1, v1, v18, s1
	v_add_nc_u32_e32 v17, 0xfffffc10, v17
	v_cndmask_b32_e32 v5, 0x7c00, v5, vcc_lo
	v_lshl_or_b32 v7, v7, 9, 0x7c00
	v_and_or_b32 v9, 0x1ff, v10, v9
	v_cndmask_b32_e64 v11, 0, 1, s2
	v_cmp_eq_u32_e64 s1, 0x40f, v15
	v_lshl_or_b32 v18, v17, 12, v19
	v_cmp_gt_i32_e32 vcc_lo, 1, v17
	v_mul_f64 v[13:14], v[13:14], s[16:17]
	v_cmp_ne_u32_e64 s0, 0, v9
	v_or_b32_e32 v11, v21, v11
	v_lshrrev_b32_e32 v9, 16, v12
	v_lshrrev_b32_e32 v15, 8, v10
	v_cndmask_b32_e64 v5, v5, v7, s1
	v_cndmask_b32_e64 v12, 0, 1, s0
	v_bfe_u32 v7, v10, 20, 11
	v_mul_f16_sdwa v0, v135, v0 dst_sel:DWORD dst_unused:UNUSED_PAD src0_sel:WORD_1 src1_sel:DWORD
	v_cndmask_b32_e32 v11, v18, v11, vcc_lo
	v_lshrrev_b32_e32 v6, 16, v6
	v_and_or_b32 v12, 0xffe, v15, v12
	v_sub_nc_u32_e32 v15, 0x3f1, v7
	v_fma_f16 v0, v135, v16, -v0
	v_and_b32_e32 v18, 7, v11
	v_and_or_b32 v1, 0x8000, v9, v1
	v_and_or_b32 v5, 0x8000, v6, v5
	v_or_b32_e32 v6, 0x1000, v12
	v_med3_i32 v9, v15, 0, 13
	v_cvt_f32_f16_e32 v0, v0
	v_cmp_lt_i32_e32 vcc_lo, 5, v18
	v_cmp_eq_u32_e64 s0, 3, v18
	v_and_or_b32 v13, 0x1ff, v14, v13
	v_lshrrev_b32_e32 v16, v9, v6
	v_and_b32_e32 v15, 0xffff, v1
	v_cvt_f64_f32_e32 v[0:1], v0
	v_lshrrev_b32_e32 v11, 2, v11
	s_or_b32 vcc_lo, s0, vcc_lo
	v_cmp_ne_u32_e64 s0, 0, v13
	v_lshlrev_b32_e32 v9, v9, v16
	v_lshrrev_b32_e32 v18, 8, v14
	v_add_co_ci_u32_e32 v11, vcc_lo, 0, v11, vcc_lo
	v_cmp_gt_i32_e32 vcc_lo, 31, v17
	v_cndmask_b32_e64 v13, 0, 1, s0
	v_cmp_ne_u32_e64 s0, v9, v6
	v_bfe_u32 v20, v14, 20, 11
	v_lshl_or_b32 v5, v5, 16, v15
	v_cndmask_b32_e32 v9, 0x7c00, v11, vcc_lo
	v_cmp_ne_u32_e32 vcc_lo, 0, v19
	v_and_or_b32 v11, 0xffe, v18, v13
	v_cndmask_b32_e64 v13, 0, 1, s0
	v_add_nc_u32_e32 v18, 0xfffffc10, v7
	v_sub_nc_u32_e32 v6, 0x3f1, v20
	v_cndmask_b32_e64 v7, 0, 1, vcc_lo
	v_lshrrev_b32_e32 v15, 16, v2
	v_or_b32_e32 v13, v16, v13
	v_lshl_or_b32 v16, v18, 12, v12
	v_cmp_gt_i32_e32 vcc_lo, 1, v18
	v_med3_i32 v21, v6, 0, 13
	v_lshl_or_b32 v22, v7, 9, 0x7c00
	v_mul_f64 v[6:7], v[0:1], s[16:17]
	v_or_b32_e32 v19, 0x1000, v11
	v_cndmask_b32_e32 v1, v16, v13, vcc_lo
	v_lshrrev_b32_e32 v16, 16, v8
	v_mul_f16_sdwa v8, v132, v15 dst_sel:DWORD dst_unused:UNUSED_PAD src0_sel:WORD_1 src1_sel:DWORD
	v_cmp_eq_u32_e64 s0, 0x40f, v17
	v_lshrrev_b32_e32 v23, v21, v19
	v_add_nc_u32_e32 v17, 0xfffffc10, v20
	v_lshrrev_b32_e32 v14, 16, v14
	v_fmac_f16_e32 v8, v132, v2
	v_cndmask_b32_e64 v13, v9, v22, s0
	v_and_b32_e32 v9, 7, v1
	v_lshlrev_b32_e32 v0, v21, v23
	v_lshrrev_b32_e32 v1, 2, v1
	v_cvt_f32_f16_e32 v8, v8
	v_and_or_b32 v13, 0x8000, v16, v13
	v_cmp_lt_i32_e64 s1, 5, v9
	v_cmp_eq_u32_e64 s2, 3, v9
	v_cmp_ne_u32_e32 vcc_lo, v0, v19
	v_cvt_f64_f32_e32 v[8:9], v8
	v_add_co_u32 v0, s0, v3, s14
	v_and_or_b32 v6, 0x1ff, v7, v6
	v_cndmask_b32_e64 v3, 0, 1, vcc_lo
	s_or_b32 vcc_lo, s2, s1
	v_lshl_or_b32 v19, v17, 12, v11
	v_cmp_gt_i32_e64 s2, 1, v17
	v_cmp_ne_u32_e64 s3, 0, v6
	v_or_b32_e32 v3, v23, v3
	v_cmp_ne_u32_e64 s1, 0, v12
	v_add_co_ci_u32_e32 v1, vcc_lo, 0, v1, vcc_lo
	v_cmp_gt_i32_e32 vcc_lo, 31, v18
	v_cndmask_b32_e64 v12, v19, v3, s2
	v_cndmask_b32_e64 v3, 0, 1, s3
	v_lshrrev_b32_e32 v19, 8, v7
	v_cndmask_b32_e64 v6, 0, 1, s1
	v_bfe_u32 v21, v7, 20, 11
	v_cndmask_b32_e32 v20, 0x7c00, v1, vcc_lo
	v_add_co_ci_u32_e64 v1, s0, s11, v4, s0
	v_and_or_b32 v19, 0xffe, v19, v3
	v_mul_f64 v[3:4], v[8:9], s[16:17]
	v_lshl_or_b32 v6, v6, 9, 0x7c00
	v_cmp_eq_u32_e32 vcc_lo, 0x40f, v18
	v_and_b32_e32 v18, 7, v12
	v_sub_nc_u32_e32 v22, 0x3f1, v21
	v_lshrrev_b32_e32 v8, 16, v10
	v_or_b32_e32 v9, 0x1000, v19
	v_cndmask_b32_e32 v6, v20, v6, vcc_lo
	v_cmp_lt_i32_e32 vcc_lo, 5, v18
	v_med3_i32 v10, v22, 0, 13
	v_cmp_eq_u32_e64 s0, 3, v18
	v_lshrrev_b32_e32 v12, 2, v12
	v_and_or_b32 v6, 0x8000, v8, v6
	v_mul_f16_sdwa v2, v132, v2 dst_sel:DWORD dst_unused:UNUSED_PAD src0_sel:WORD_1 src1_sel:DWORD
	v_lshrrev_b32_e32 v8, v10, v9
	s_or_b32 vcc_lo, s0, vcc_lo
	v_cmp_ne_u32_e64 s0, 0, v11
	ds_read_b32 v11, v131 offset:25272
	v_add_co_ci_u32_e32 v12, vcc_lo, 0, v12, vcc_lo
	v_lshlrev_b32_e32 v10, v10, v8
	v_and_b32_e32 v13, 0xffff, v13
	v_fma_f16 v2, v132, v15, -v2
	v_and_or_b32 v3, 0x1ff, v4, v3
	v_cndmask_b32_e64 v16, 0, 1, s0
	v_cmp_ne_u32_e32 vcc_lo, v10, v9
	v_lshl_or_b32 v18, v6, 16, v13
	v_cmp_gt_i32_e64 s0, 31, v17
	v_cvt_f32_f16_e32 v2, v2
	v_add_nc_u32_e32 v15, 0xfffffc10, v21
	v_cndmask_b32_e64 v6, 0, 1, vcc_lo
	v_cmp_ne_u32_e32 vcc_lo, 0, v3
	v_cndmask_b32_e64 v9, 0x7c00, v12, s0
	v_cvt_f64_f32_e32 v[2:3], v2
	v_lshrrev_b32_e32 v12, 8, v4
	v_bfe_u32 v13, v4, 20, 11
	v_cndmask_b32_e64 v10, 0, 1, vcc_lo
	s_waitcnt lgkmcnt(0)
	v_lshrrev_b32_e32 v20, 16, v11
	v_or_b32_e32 v6, v8, v6
	v_lshl_or_b32 v8, v15, 12, v19
	v_cmp_gt_i32_e32 vcc_lo, 1, v15
	v_and_or_b32 v21, 0xffe, v12, v10
	v_sub_nc_u32_e32 v10, 0x3f1, v13
	v_mul_f16_sdwa v12, v133, v20 dst_sel:DWORD dst_unused:UNUSED_PAD src0_sel:WORD_1 src1_sel:DWORD
	v_lshl_or_b32 v16, v16, 9, 0x7c00
	v_cndmask_b32_e32 v6, v8, v6, vcc_lo
	v_cmp_eq_u32_e32 vcc_lo, 0x40f, v17
	v_or_b32_e32 v17, 0x1000, v21
	v_med3_i32 v8, v10, 0, 13
	v_fmac_f16_e32 v12, v133, v11
	v_and_b32_e32 v10, 7, v6
	v_cndmask_b32_e32 v16, v9, v16, vcc_lo
	v_mul_f16_sdwa v11, v133, v11 dst_sel:DWORD dst_unused:UNUSED_PAD src0_sel:WORD_1 src1_sel:DWORD
	v_lshrrev_b32_e32 v22, v8, v17
	v_cvt_f32_f16_e32 v9, v12
	v_cmp_lt_i32_e32 vcc_lo, 5, v10
	v_cmp_eq_u32_e64 s0, 3, v10
	v_mul_f64 v[2:3], v[2:3], s[16:17]
	v_lshlrev_b32_e32 v12, v8, v22
	v_cvt_f64_f32_e32 v[8:9], v9
	v_fma_f16 v11, v133, v20, -v11
	s_or_b32 vcc_lo, s0, vcc_lo
	v_lshrrev_b32_e32 v6, 2, v6
	v_cmp_ne_u32_e64 s0, v12, v17
	v_add_nc_u32_e32 v17, 0xfffffc10, v13
	v_cvt_f32_f16_e32 v11, v11
	v_lshrrev_b32_e32 v7, 16, v7
	v_add_co_ci_u32_e32 v6, vcc_lo, 0, v6, vcc_lo
	v_cndmask_b32_e64 v12, 0, 1, s0
	v_cmp_ne_u32_e32 vcc_lo, 0, v19
	v_cmp_gt_i32_e64 s0, 31, v15
	v_and_or_b32 v14, 0x8000, v14, v16
	v_add_co_u32 v10, s1, v0, s14
	v_or_b32_e32 v20, v22, v12
	v_cvt_f64_f32_e32 v[12:13], v11
	v_cndmask_b32_e64 v19, 0, 1, vcc_lo
	v_cndmask_b32_e64 v6, 0x7c00, v6, s0
	v_and_or_b32 v2, 0x1ff, v3, v2
	v_cmp_eq_u32_e64 s0, 0x40f, v15
	v_mul_f64 v[8:9], v[8:9], s[16:17]
	v_lshl_or_b32 v19, v19, 9, 0x7c00
	v_lshl_or_b32 v22, v17, 12, v21
	v_cmp_gt_i32_e32 vcc_lo, 1, v17
	v_cmp_ne_u32_e64 s2, 0, v2
	v_add_co_ci_u32_e64 v11, s1, s11, v1, s1
	v_cndmask_b32_e64 v6, v6, v19, s0
	v_cndmask_b32_e32 v2, v22, v20, vcc_lo
	v_cndmask_b32_e64 v15, 0, 1, s2
	v_lshrrev_b32_e32 v19, 8, v3
	v_bfe_u32 v20, v3, 20, 11
	v_and_or_b32 v16, 0x8000, v7, v6
	v_and_b32_e32 v22, 7, v2
	v_lshrrev_b32_e32 v2, 2, v2
	v_and_or_b32 v15, 0xffe, v19, v15
	v_sub_nc_u32_e32 v19, 0x3f1, v20
	v_mul_f64 v[6:7], v[12:13], s[16:17]
	v_cmp_lt_i32_e32 vcc_lo, 5, v22
	v_cmp_eq_u32_e64 s0, 3, v22
	v_or_b32_e32 v12, 0x1000, v15
	v_med3_i32 v13, v19, 0, 13
	v_and_or_b32 v8, 0x1ff, v9, v8
	v_bfe_u32 v22, v9, 20, 11
	s_or_b32 vcc_lo, s0, vcc_lo
	v_add_nc_u32_e32 v20, 0xfffffc10, v20
	v_lshrrev_b32_e32 v19, v13, v12
	v_cmp_ne_u32_e64 s0, 0, v8
	v_add_co_ci_u32_e32 v2, vcc_lo, 0, v2, vcc_lo
	v_cmp_ne_u32_e32 vcc_lo, 0, v21
	v_lshlrev_b32_e32 v8, v13, v19
	v_cndmask_b32_e64 v13, 0, 1, s0
	v_lshrrev_b32_e32 v21, 8, v9
	v_cmp_gt_i32_e64 s0, 31, v17
	v_cndmask_b32_e64 v23, 0, 1, vcc_lo
	v_cmp_ne_u32_e32 vcc_lo, v8, v12
	v_sub_nc_u32_e32 v12, 0x3f1, v22
	v_and_or_b32 v8, 0xffe, v21, v13
	v_and_or_b32 v6, 0x1ff, v7, v6
	v_lshrrev_b32_e32 v25, 8, v7
	v_cndmask_b32_e64 v13, 0, 1, vcc_lo
	v_med3_i32 v12, v12, 0, 13
	v_or_b32_e32 v21, 0x1000, v8
	v_cmp_ne_u32_e32 vcc_lo, 0, v6
	v_bfe_u32 v26, v7, 20, 11
	v_or_b32_e32 v6, v19, v13
	v_lshl_or_b32 v13, v20, 12, v15
	v_lshrrev_b32_e32 v19, v12, v21
	v_cndmask_b32_e64 v24, 0, 1, vcc_lo
	v_cmp_gt_i32_e32 vcc_lo, 1, v20
	v_cndmask_b32_e64 v2, 0x7c00, v2, s0
	v_lshl_or_b32 v23, v23, 9, 0x7c00
	v_lshlrev_b32_e32 v12, v12, v19
	v_and_or_b32 v24, 0xffe, v25, v24
	v_sub_nc_u32_e32 v25, 0x3f1, v26
	v_cndmask_b32_e32 v6, v13, v6, vcc_lo
	v_cmp_eq_u32_e32 vcc_lo, 0x40f, v17
	v_cmp_ne_u32_e64 s0, v12, v21
	v_or_b32_e32 v12, 0x1000, v24
	v_med3_i32 v13, v25, 0, 13
	v_and_b32_e32 v17, 7, v6
	v_cndmask_b32_e32 v2, v2, v23, vcc_lo
	v_cndmask_b32_e64 v21, 0, 1, s0
	v_add_nc_u32_e32 v22, 0xfffffc10, v22
	v_lshrrev_b32_e32 v23, v13, v12
	v_cmp_lt_i32_e32 vcc_lo, 5, v17
	v_cmp_eq_u32_e64 s0, 3, v17
	v_or_b32_e32 v17, v19, v21
	v_lshl_or_b32 v19, v22, 12, v8
	v_lshlrev_b32_e32 v13, v13, v23
	v_cmp_gt_i32_e64 s1, 1, v22
	s_or_b32 vcc_lo, s0, vcc_lo
	v_lshrrev_b32_e32 v6, 2, v6
	v_lshrrev_b32_e32 v4, 16, v4
	v_cmp_ne_u32_e64 s0, v13, v12
	v_cndmask_b32_e64 v12, v19, v17, s1
	v_cmp_ne_u32_e64 s1, 0, v15
	v_add_nc_u32_e32 v15, 0xfffffc10, v26
	v_add_co_ci_u32_e32 v6, vcc_lo, 0, v6, vcc_lo
	v_cndmask_b32_e64 v13, 0, 1, s0
	v_and_b32_e32 v19, 7, v12
	v_lshl_or_b32 v21, v15, 12, v24
	v_cmp_gt_i32_e64 s0, 1, v15
	v_cmp_gt_i32_e32 vcc_lo, 31, v20
	v_or_b32_e32 v13, v23, v13
	v_and_or_b32 v2, 0x8000, v4, v2
	v_cndmask_b32_e64 v17, 0, 1, s1
	v_lshrrev_b32_e32 v12, 2, v12
	v_cndmask_b32_e32 v4, 0x7c00, v6, vcc_lo
	v_cndmask_b32_e64 v13, v21, v13, s0
	v_cmp_lt_i32_e32 vcc_lo, 5, v19
	v_cmp_eq_u32_e64 s0, 3, v19
	v_cmp_ne_u32_e64 s2, 0, v8
	v_lshl_or_b32 v6, v17, 9, 0x7c00
	v_and_b32_e32 v8, 7, v13
	v_cmp_eq_u32_e64 s1, 0x40f, v20
	s_or_b32 vcc_lo, s0, vcc_lo
	v_cndmask_b32_e64 v17, 0, 1, s2
	v_add_co_ci_u32_e32 v12, vcc_lo, 0, v12, vcc_lo
	v_cmp_gt_i32_e32 vcc_lo, 31, v22
	v_cmp_lt_i32_e64 s0, 5, v8
	v_cmp_eq_u32_e64 s2, 3, v8
	v_cndmask_b32_e64 v4, v4, v6, s1
	v_lshrrev_b32_e32 v6, 2, v13
	v_cndmask_b32_e32 v8, 0x7c00, v12, vcc_lo
	v_lshl_or_b32 v12, v17, 9, 0x7c00
	s_or_b32 vcc_lo, s2, s0
	v_cmp_ne_u32_e64 s0, 0, v24
	v_add_co_ci_u32_e32 v6, vcc_lo, 0, v6, vcc_lo
	v_cmp_eq_u32_e64 s1, 0x40f, v22
	v_cmp_gt_i32_e32 vcc_lo, 31, v15
	v_cndmask_b32_e64 v13, 0, 1, s0
	v_and_b32_e32 v14, 0xffff, v14
	v_lshrrev_b32_e32 v9, 16, v9
	v_cndmask_b32_e64 v8, v8, v12, s1
	v_cndmask_b32_e32 v6, 0x7c00, v6, vcc_lo
	v_lshl_or_b32 v12, v13, 9, 0x7c00
	v_cmp_eq_u32_e32 vcc_lo, 0x40f, v15
	v_lshrrev_b32_e32 v3, 16, v3
	v_lshl_or_b32 v13, v16, 16, v14
	v_and_b32_e32 v14, 0xffff, v2
	v_and_or_b32 v8, 0x8000, v9, v8
	v_cndmask_b32_e32 v6, v6, v12, vcc_lo
	v_lshrrev_b32_e32 v7, 16, v7
	v_add_co_u32 v2, vcc_lo, v10, s12
	v_and_or_b32 v4, 0x8000, v3, v4
	v_add_co_ci_u32_e32 v3, vcc_lo, s13, v11, vcc_lo
	v_and_or_b32 v9, 0x8000, v7, v6
	v_and_b32_e32 v8, 0xffff, v8
	v_add_co_u32 v6, vcc_lo, v2, s14
	v_add_co_ci_u32_e32 v7, vcc_lo, s11, v3, vcc_lo
	v_lshl_or_b32 v12, v9, 16, v8
	v_add_co_u32 v8, vcc_lo, v6, s14
	v_lshl_or_b32 v4, v4, 16, v14
	v_add_co_ci_u32_e32 v9, vcc_lo, s11, v7, vcc_lo
	global_store_dword v[0:1], v5, off
	global_store_dword v[10:11], v18, off
	;; [unrolled: 1-line block ×5, first 2 shown]
.LBB0_2:
	s_endpgm
	.section	.rodata,"a",@progbits
	.p2align	6, 0x0
	.amdhsa_kernel bluestein_single_back_len6561_dim1_half_op_CI_CI
		.amdhsa_group_segment_fixed_size 26244
		.amdhsa_private_segment_fixed_size 0
		.amdhsa_kernarg_size 104
		.amdhsa_user_sgpr_count 6
		.amdhsa_user_sgpr_private_segment_buffer 1
		.amdhsa_user_sgpr_dispatch_ptr 0
		.amdhsa_user_sgpr_queue_ptr 0
		.amdhsa_user_sgpr_kernarg_segment_ptr 1
		.amdhsa_user_sgpr_dispatch_id 0
		.amdhsa_user_sgpr_flat_scratch_init 0
		.amdhsa_user_sgpr_private_segment_size 0
		.amdhsa_wavefront_size32 1
		.amdhsa_uses_dynamic_stack 0
		.amdhsa_system_sgpr_private_segment_wavefront_offset 0
		.amdhsa_system_sgpr_workgroup_id_x 1
		.amdhsa_system_sgpr_workgroup_id_y 0
		.amdhsa_system_sgpr_workgroup_id_z 0
		.amdhsa_system_sgpr_workgroup_info 0
		.amdhsa_system_vgpr_workitem_id 0
		.amdhsa_next_free_vgpr 256
		.amdhsa_next_free_sgpr 20
		.amdhsa_reserve_vcc 1
		.amdhsa_reserve_flat_scratch 0
		.amdhsa_float_round_mode_32 0
		.amdhsa_float_round_mode_16_64 0
		.amdhsa_float_denorm_mode_32 3
		.amdhsa_float_denorm_mode_16_64 3
		.amdhsa_dx10_clamp 1
		.amdhsa_ieee_mode 1
		.amdhsa_fp16_overflow 0
		.amdhsa_workgroup_processor_mode 1
		.amdhsa_memory_ordered 1
		.amdhsa_forward_progress 0
		.amdhsa_shared_vgpr_count 0
		.amdhsa_exception_fp_ieee_invalid_op 0
		.amdhsa_exception_fp_denorm_src 0
		.amdhsa_exception_fp_ieee_div_zero 0
		.amdhsa_exception_fp_ieee_overflow 0
		.amdhsa_exception_fp_ieee_underflow 0
		.amdhsa_exception_fp_ieee_inexact 0
		.amdhsa_exception_int_div_zero 0
	.end_amdhsa_kernel
	.text
.Lfunc_end0:
	.size	bluestein_single_back_len6561_dim1_half_op_CI_CI, .Lfunc_end0-bluestein_single_back_len6561_dim1_half_op_CI_CI
                                        ; -- End function
	.section	.AMDGPU.csdata,"",@progbits
; Kernel info:
; codeLenInByte = 53596
; NumSgprs: 22
; NumVgprs: 256
; ScratchSize: 0
; MemoryBound: 0
; FloatMode: 240
; IeeeMode: 1
; LDSByteSize: 26244 bytes/workgroup (compile time only)
; SGPRBlocks: 2
; VGPRBlocks: 31
; NumSGPRsForWavesPerEU: 22
; NumVGPRsForWavesPerEU: 256
; Occupancy: 4
; WaveLimiterHint : 1
; COMPUTE_PGM_RSRC2:SCRATCH_EN: 0
; COMPUTE_PGM_RSRC2:USER_SGPR: 6
; COMPUTE_PGM_RSRC2:TRAP_HANDLER: 0
; COMPUTE_PGM_RSRC2:TGID_X_EN: 1
; COMPUTE_PGM_RSRC2:TGID_Y_EN: 0
; COMPUTE_PGM_RSRC2:TGID_Z_EN: 0
; COMPUTE_PGM_RSRC2:TIDIG_COMP_CNT: 0
	.text
	.p2alignl 6, 3214868480
	.fill 48, 4, 3214868480
	.type	__hip_cuid_de53c983319e0898,@object ; @__hip_cuid_de53c983319e0898
	.section	.bss,"aw",@nobits
	.globl	__hip_cuid_de53c983319e0898
__hip_cuid_de53c983319e0898:
	.byte	0                               ; 0x0
	.size	__hip_cuid_de53c983319e0898, 1

	.ident	"AMD clang version 19.0.0git (https://github.com/RadeonOpenCompute/llvm-project roc-6.4.0 25133 c7fe45cf4b819c5991fe208aaa96edf142730f1d)"
	.section	".note.GNU-stack","",@progbits
	.addrsig
	.addrsig_sym __hip_cuid_de53c983319e0898
	.amdgpu_metadata
---
amdhsa.kernels:
  - .args:
      - .actual_access:  read_only
        .address_space:  global
        .offset:         0
        .size:           8
        .value_kind:     global_buffer
      - .actual_access:  read_only
        .address_space:  global
        .offset:         8
        .size:           8
        .value_kind:     global_buffer
      - .actual_access:  read_only
        .address_space:  global
        .offset:         16
        .size:           8
        .value_kind:     global_buffer
      - .actual_access:  read_only
        .address_space:  global
        .offset:         24
        .size:           8
        .value_kind:     global_buffer
      - .actual_access:  read_only
        .address_space:  global
        .offset:         32
        .size:           8
        .value_kind:     global_buffer
      - .offset:         40
        .size:           8
        .value_kind:     by_value
      - .address_space:  global
        .offset:         48
        .size:           8
        .value_kind:     global_buffer
      - .address_space:  global
        .offset:         56
        .size:           8
        .value_kind:     global_buffer
      - .address_space:  global
        .offset:         64
        .size:           8
        .value_kind:     global_buffer
      - .address_space:  global
        .offset:         72
        .size:           8
        .value_kind:     global_buffer
      - .offset:         80
        .size:           4
        .value_kind:     by_value
      - .address_space:  global
        .offset:         88
        .size:           8
        .value_kind:     global_buffer
      - .address_space:  global
        .offset:         96
        .size:           8
        .value_kind:     global_buffer
    .group_segment_fixed_size: 26244
    .kernarg_segment_align: 8
    .kernarg_segment_size: 104
    .language:       OpenCL C
    .language_version:
      - 2
      - 0
    .max_flat_workgroup_size: 243
    .name:           bluestein_single_back_len6561_dim1_half_op_CI_CI
    .private_segment_fixed_size: 0
    .sgpr_count:     22
    .sgpr_spill_count: 0
    .symbol:         bluestein_single_back_len6561_dim1_half_op_CI_CI.kd
    .uniform_work_group_size: 1
    .uses_dynamic_stack: false
    .vgpr_count:     256
    .vgpr_spill_count: 0
    .wavefront_size: 32
    .workgroup_processor_mode: 1
amdhsa.target:   amdgcn-amd-amdhsa--gfx1030
amdhsa.version:
  - 1
  - 2
...

	.end_amdgpu_metadata
